;; amdgpu-corpus repo=ROCm/rocBLAS kind=compiled arch=gfx1201 opt=O3
	.amdgcn_target "amdgcn-amd-amdhsa--gfx1201"
	.amdhsa_code_object_version 6
	.section	.text._ZL18rocblas_spr_kernelILi64ELi16ELi2E24rocblas_internal_val_ptrIfEPKfPfEvbbiT2_T3_lllT4_lli,"axG",@progbits,_ZL18rocblas_spr_kernelILi64ELi16ELi2E24rocblas_internal_val_ptrIfEPKfPfEvbbiT2_T3_lllT4_lli,comdat
	.globl	_ZL18rocblas_spr_kernelILi64ELi16ELi2E24rocblas_internal_val_ptrIfEPKfPfEvbbiT2_T3_lllT4_lli ; -- Begin function _ZL18rocblas_spr_kernelILi64ELi16ELi2E24rocblas_internal_val_ptrIfEPKfPfEvbbiT2_T3_lllT4_lli
	.p2align	8
	.type	_ZL18rocblas_spr_kernelILi64ELi16ELi2E24rocblas_internal_val_ptrIfEPKfPfEvbbiT2_T3_lllT4_lli,@function
_ZL18rocblas_spr_kernelILi64ELi16ELi2E24rocblas_internal_val_ptrIfEPKfPfEvbbiT2_T3_lllT4_lli: ; @_ZL18rocblas_spr_kernelILi64ELi16ELi2E24rocblas_internal_val_ptrIfEPKfPfEvbbiT2_T3_lllT4_lli
; %bb.0:
	s_clause 0x1
	s_load_b32 s2, s[0:1], 0x0
	s_load_b512 s[4:19], s[0:1], 0x8
	s_wait_kmcnt 0x0
	s_bitcmp0_b32 s2, 0
	s_mov_b32 s2, 0
	s_cbranch_scc0 .LBB0_2
; %bb.1:
	s_load_b32 s22, s[4:5], 0x0
	s_and_not1_b32 vcc_lo, exec_lo, s2
	s_cbranch_vccz .LBB0_3
	s_branch .LBB0_4
.LBB0_2:
                                        ; implicit-def: $sgpr22
.LBB0_3:
	s_wait_kmcnt 0x0
	s_mov_b32 s22, s4
.LBB0_4:
	s_wait_kmcnt 0x0
	s_cmp_eq_f32 s22, 0
	s_cbranch_scc1 .LBB0_20
; %bb.5:
	s_load_b32 s23, s[0:1], 0x48
	s_lshr_b32 s20, ttmp7, 16
	s_wait_kmcnt 0x0
	s_cmp_ge_u32 s20, s23
	s_cbranch_scc1 .LBB0_20
; %bb.6:
	s_load_b64 s[2:3], s[0:1], 0x0
	v_and_b32_e32 v1, 0x3ff, v0
	s_lshl_b64 s[0:1], s[16:17], 2
	s_lshl_b64 s[4:5], s[8:9], 2
	v_bfe_u32 v0, v0, 10, 10
	s_add_nc_u64 s[8:9], s[14:15], s[0:1]
	v_lshl_add_u32 v10, ttmp9, 7, v1
	s_add_nc_u64 s[14:15], s[6:7], s[4:5]
	s_mov_b32 s21, 0
	s_delay_alu instid0(VALU_DEP_1) | instskip(SKIP_2) | instid1(VALU_DEP_3)
	v_add_nc_u32_e32 v11, 64, v10
	v_ashrrev_i32_e32 v6, 31, v10
	v_mul_lo_u32 v7, s11, v10
	v_ashrrev_i32_e32 v8, 31, v11
	s_delay_alu instid0(VALU_DEP_3)
	v_mul_lo_u32 v9, s10, v6
	v_mul_lo_u32 v12, s11, v11
	s_wait_kmcnt 0x0
	s_bitcmp1_b32 s2, 8
	v_mul_lo_u32 v8, s10, v8
	s_cselect_b32 vcc_lo, -1, 0
	s_and_b32 s0, ttmp7, 0xffff
	v_cmp_gt_i32_e64 s1, s3, v11
	s_wait_alu 0xfffe
	v_lshl_add_u32 v2, s0, 4, v0
	s_lshl_b32 s0, s3, 1
	v_mad_co_u64_u32 v[0:1], null, s10, v10, 0
	s_delay_alu instid0(VALU_DEP_2)
	v_mad_co_u64_u32 v[3:4], null, v2, v2, v[2:3]
	s_wait_alu 0xfffe
	v_sub_nc_u32_e32 v5, s0, v2
	v_cmp_gt_i32_e64 s0, s3, v10
	v_cmp_gt_i32_e64 s2, s3, v2
	v_add3_u32 v1, v1, v9, v7
	v_sub_nc_u32_e32 v9, v10, v2
	v_cmp_ge_i32_e64 s3, v10, v2
	v_mad_co_u64_u32 v[4:5], null, v2, v5, v[2:3]
	v_lshrrev_b32_e32 v13, 31, v3
	v_mad_co_u64_u32 v[5:6], null, s10, v11, 0
	v_cmp_le_i32_e64 s4, v10, v2
	v_cmp_le_i32_e64 s5, v2, v11
	s_delay_alu instid0(VALU_DEP_4)
	v_add_nc_u32_e32 v3, v3, v13
	v_lshrrev_b32_e32 v14, 31, v4
	v_mul_lo_u32 v13, s11, v2
	v_cmp_le_i32_e64 s6, v11, v2
	v_add3_u32 v6, v6, v8, v12
	v_ashrrev_i32_e32 v3, 1, v3
	v_add_nc_u32_e32 v4, v4, v14
	v_ashrrev_i32_e32 v12, 31, v2
	v_mad_co_u64_u32 v[7:8], null, s10, v2, 0
	s_delay_alu instid0(VALU_DEP_4) | instskip(NEXT) | instid1(VALU_DEP_4)
	v_add_nc_u32_e32 v3, v3, v10
	v_ashrrev_i32_e32 v4, 1, v4
	s_delay_alu instid0(VALU_DEP_4)
	v_mul_lo_u32 v12, s10, v12
	v_lshlrev_b64_e32 v[0:1], 2, v[0:1]
	s_and_b32 s7, s3, s0
	s_and_b32 s4, s4, s2
	v_add_nc_u32_e32 v4, v9, v4
	s_xor_b32 s10, vcc_lo, -1
	s_and_b32 s5, s5, s1
	s_and_b32 s6, s2, s6
	v_add3_u32 v8, v8, v12, v13
	v_cndmask_b32_e32 v9, v4, v3, vcc_lo
	v_lshlrev_b64_e32 v[2:3], 2, v[5:6]
	s_delay_alu instid0(VALU_DEP_3) | instskip(NEXT) | instid1(VALU_DEP_3)
	v_lshlrev_b64_e32 v[4:5], 2, v[7:8]
	v_ashrrev_i32_e32 v10, 31, v9
	s_delay_alu instid0(VALU_DEP_1)
	v_lshlrev_b64_e32 v[6:7], 2, v[9:10]
	s_branch .LBB0_8
.LBB0_7:                                ;   in Loop: Header=BB0_8 Depth=1
	s_wait_alu 0xfffe
	s_or_b32 exec_lo, exec_lo, s11
	s_add_co_i32 s20, s20, 0x10000
	s_delay_alu instid0(SALU_CYCLE_1)
	s_cmp_lt_u32 s20, s23
	s_cbranch_scc0 .LBB0_20
.LBB0_8:                                ; =>This Inner Loop Header: Depth=1
	s_wait_alu 0xfffe
	s_and_b32 vcc_lo, exec_lo, s10
	s_mov_b32 s11, 0
	s_mov_b32 s0, -1
	s_wait_alu 0xfffe
	s_cbranch_vccz .LBB0_10
; %bb.9:                                ;   in Loop: Header=BB0_8 Depth=1
	s_mov_b32 s0, 0
	s_and_b32 s11, s7, exec_lo
.LBB0_10:                               ;   in Loop: Header=BB0_8 Depth=1
	s_wait_alu 0xfffe
	s_and_not1_b32 vcc_lo, exec_lo, s0
	s_wait_alu 0xfffe
	s_cbranch_vccnz .LBB0_12
; %bb.11:                               ;   in Loop: Header=BB0_8 Depth=1
	s_and_not1_b32 s0, s11, exec_lo
	s_and_b32 s1, s4, exec_lo
	s_wait_alu 0xfffe
	s_or_b32 s11, s0, s1
.LBB0_12:                               ;   in Loop: Header=BB0_8 Depth=1
	s_mul_u64 s[0:1], s[12:13], s[20:21]
	s_mul_u64 s[16:17], s[18:19], s[20:21]
	s_wait_alu 0xfffe
	s_lshl_b64 s[0:1], s[0:1], 2
	s_wait_alu 0xfffe
	s_add_nc_u64 s[2:3], s[14:15], s[0:1]
	s_lshl_b64 s[0:1], s[16:17], 2
	s_wait_alu 0xfffe
	v_add_co_u32 v8, vcc_lo, s2, v4
	s_wait_alu 0xfffd
	v_add_co_ci_u32_e64 v9, null, s3, v5, vcc_lo
	s_add_nc_u64 s[0:1], s[8:9], s[0:1]
	s_and_saveexec_b32 s16, s11
	s_cbranch_execz .LBB0_14
; %bb.13:                               ;   in Loop: Header=BB0_8 Depth=1
	v_add_co_u32 v10, vcc_lo, s2, v0
	s_wait_alu 0xfffd
	v_add_co_ci_u32_e64 v11, null, s3, v1, vcc_lo
	s_wait_alu 0xfffe
	v_add_co_u32 v12, vcc_lo, s0, v6
	s_wait_alu 0xfffd
	v_add_co_ci_u32_e64 v13, null, s1, v7, vcc_lo
	s_clause 0x1
	global_load_b32 v10, v[10:11], off
	global_load_b32 v11, v[8:9], off
	;; [unrolled: 1-line block ×3, first 2 shown]
	s_wait_loadcnt 0x2
	v_mul_f32_e32 v10, s22, v10
	s_wait_loadcnt 0x0
	s_delay_alu instid0(VALU_DEP_1)
	v_fmac_f32_e32 v14, v10, v11
	global_store_b32 v[12:13], v14, off
.LBB0_14:                               ;   in Loop: Header=BB0_8 Depth=1
	s_or_b32 exec_lo, exec_lo, s16
	s_delay_alu instid0(SALU_CYCLE_1)
	s_and_not1_b32 vcc_lo, exec_lo, s10
	s_wait_alu 0xfffe
	s_cbranch_vccnz .LBB0_19
; %bb.15:                               ;   in Loop: Header=BB0_8 Depth=1
	s_and_b32 s16, s5, exec_lo
	s_cbranch_execnz .LBB0_17
.LBB0_16:                               ;   in Loop: Header=BB0_8 Depth=1
	s_and_not1_b32 s11, s16, exec_lo
	s_and_b32 s16, s6, exec_lo
	s_wait_alu 0xfffe
	s_or_b32 s16, s11, s16
.LBB0_17:                               ;   in Loop: Header=BB0_8 Depth=1
	s_delay_alu instid0(SALU_CYCLE_1)
	s_and_saveexec_b32 s11, s16
	s_cbranch_execz .LBB0_7
; %bb.18:                               ;   in Loop: Header=BB0_8 Depth=1
	v_add_co_u32 v10, vcc_lo, s2, v2
	s_wait_alu 0xfffd
	v_add_co_ci_u32_e64 v11, null, s3, v3, vcc_lo
	v_add_co_u32 v12, vcc_lo, s0, v6
	s_wait_alu 0xfffd
	v_add_co_ci_u32_e64 v13, null, s1, v7, vcc_lo
	s_clause 0x1
	global_load_b32 v10, v[10:11], off
	global_load_b32 v8, v[8:9], off
	global_load_b32 v9, v[12:13], off offset:256
	s_wait_loadcnt 0x2
	v_mul_f32_e32 v10, s22, v10
	s_wait_loadcnt 0x0
	s_delay_alu instid0(VALU_DEP_1)
	v_fmac_f32_e32 v9, v10, v8
	global_store_b32 v[12:13], v9, off offset:256
	s_branch .LBB0_7
.LBB0_19:                               ;   in Loop: Header=BB0_8 Depth=1
	s_mov_b32 s16, 0
	s_branch .LBB0_16
.LBB0_20:
	s_endpgm
	.section	.rodata,"a",@progbits
	.p2align	6, 0x0
	.amdhsa_kernel _ZL18rocblas_spr_kernelILi64ELi16ELi2E24rocblas_internal_val_ptrIfEPKfPfEvbbiT2_T3_lllT4_lli
		.amdhsa_group_segment_fixed_size 0
		.amdhsa_private_segment_fixed_size 0
		.amdhsa_kernarg_size 76
		.amdhsa_user_sgpr_count 2
		.amdhsa_user_sgpr_dispatch_ptr 0
		.amdhsa_user_sgpr_queue_ptr 0
		.amdhsa_user_sgpr_kernarg_segment_ptr 1
		.amdhsa_user_sgpr_dispatch_id 0
		.amdhsa_user_sgpr_private_segment_size 0
		.amdhsa_wavefront_size32 1
		.amdhsa_uses_dynamic_stack 0
		.amdhsa_enable_private_segment 0
		.amdhsa_system_sgpr_workgroup_id_x 1
		.amdhsa_system_sgpr_workgroup_id_y 1
		.amdhsa_system_sgpr_workgroup_id_z 1
		.amdhsa_system_sgpr_workgroup_info 0
		.amdhsa_system_vgpr_workitem_id 1
		.amdhsa_next_free_vgpr 15
		.amdhsa_next_free_sgpr 24
		.amdhsa_reserve_vcc 1
		.amdhsa_float_round_mode_32 0
		.amdhsa_float_round_mode_16_64 0
		.amdhsa_float_denorm_mode_32 3
		.amdhsa_float_denorm_mode_16_64 3
		.amdhsa_fp16_overflow 0
		.amdhsa_workgroup_processor_mode 1
		.amdhsa_memory_ordered 1
		.amdhsa_forward_progress 1
		.amdhsa_inst_pref_size 8
		.amdhsa_round_robin_scheduling 0
		.amdhsa_exception_fp_ieee_invalid_op 0
		.amdhsa_exception_fp_denorm_src 0
		.amdhsa_exception_fp_ieee_div_zero 0
		.amdhsa_exception_fp_ieee_overflow 0
		.amdhsa_exception_fp_ieee_underflow 0
		.amdhsa_exception_fp_ieee_inexact 0
		.amdhsa_exception_int_div_zero 0
	.end_amdhsa_kernel
	.section	.text._ZL18rocblas_spr_kernelILi64ELi16ELi2E24rocblas_internal_val_ptrIfEPKfPfEvbbiT2_T3_lllT4_lli,"axG",@progbits,_ZL18rocblas_spr_kernelILi64ELi16ELi2E24rocblas_internal_val_ptrIfEPKfPfEvbbiT2_T3_lllT4_lli,comdat
.Lfunc_end0:
	.size	_ZL18rocblas_spr_kernelILi64ELi16ELi2E24rocblas_internal_val_ptrIfEPKfPfEvbbiT2_T3_lllT4_lli, .Lfunc_end0-_ZL18rocblas_spr_kernelILi64ELi16ELi2E24rocblas_internal_val_ptrIfEPKfPfEvbbiT2_T3_lllT4_lli
                                        ; -- End function
	.set _ZL18rocblas_spr_kernelILi64ELi16ELi2E24rocblas_internal_val_ptrIfEPKfPfEvbbiT2_T3_lllT4_lli.num_vgpr, 15
	.set _ZL18rocblas_spr_kernelILi64ELi16ELi2E24rocblas_internal_val_ptrIfEPKfPfEvbbiT2_T3_lllT4_lli.num_agpr, 0
	.set _ZL18rocblas_spr_kernelILi64ELi16ELi2E24rocblas_internal_val_ptrIfEPKfPfEvbbiT2_T3_lllT4_lli.numbered_sgpr, 24
	.set _ZL18rocblas_spr_kernelILi64ELi16ELi2E24rocblas_internal_val_ptrIfEPKfPfEvbbiT2_T3_lllT4_lli.num_named_barrier, 0
	.set _ZL18rocblas_spr_kernelILi64ELi16ELi2E24rocblas_internal_val_ptrIfEPKfPfEvbbiT2_T3_lllT4_lli.private_seg_size, 0
	.set _ZL18rocblas_spr_kernelILi64ELi16ELi2E24rocblas_internal_val_ptrIfEPKfPfEvbbiT2_T3_lllT4_lli.uses_vcc, 1
	.set _ZL18rocblas_spr_kernelILi64ELi16ELi2E24rocblas_internal_val_ptrIfEPKfPfEvbbiT2_T3_lllT4_lli.uses_flat_scratch, 0
	.set _ZL18rocblas_spr_kernelILi64ELi16ELi2E24rocblas_internal_val_ptrIfEPKfPfEvbbiT2_T3_lllT4_lli.has_dyn_sized_stack, 0
	.set _ZL18rocblas_spr_kernelILi64ELi16ELi2E24rocblas_internal_val_ptrIfEPKfPfEvbbiT2_T3_lllT4_lli.has_recursion, 0
	.set _ZL18rocblas_spr_kernelILi64ELi16ELi2E24rocblas_internal_val_ptrIfEPKfPfEvbbiT2_T3_lllT4_lli.has_indirect_call, 0
	.section	.AMDGPU.csdata,"",@progbits
; Kernel info:
; codeLenInByte = 952
; TotalNumSgprs: 26
; NumVgprs: 15
; ScratchSize: 0
; MemoryBound: 0
; FloatMode: 240
; IeeeMode: 1
; LDSByteSize: 0 bytes/workgroup (compile time only)
; SGPRBlocks: 0
; VGPRBlocks: 1
; NumSGPRsForWavesPerEU: 26
; NumVGPRsForWavesPerEU: 15
; Occupancy: 16
; WaveLimiterHint : 0
; COMPUTE_PGM_RSRC2:SCRATCH_EN: 0
; COMPUTE_PGM_RSRC2:USER_SGPR: 2
; COMPUTE_PGM_RSRC2:TRAP_HANDLER: 0
; COMPUTE_PGM_RSRC2:TGID_X_EN: 1
; COMPUTE_PGM_RSRC2:TGID_Y_EN: 1
; COMPUTE_PGM_RSRC2:TGID_Z_EN: 1
; COMPUTE_PGM_RSRC2:TIDIG_COMP_CNT: 1
	.section	.text._ZL18rocblas_spr_kernelILi64ELi16ELi2E24rocblas_internal_val_ptrIdEPKdPdEvbbiT2_T3_lllT4_lli,"axG",@progbits,_ZL18rocblas_spr_kernelILi64ELi16ELi2E24rocblas_internal_val_ptrIdEPKdPdEvbbiT2_T3_lllT4_lli,comdat
	.globl	_ZL18rocblas_spr_kernelILi64ELi16ELi2E24rocblas_internal_val_ptrIdEPKdPdEvbbiT2_T3_lllT4_lli ; -- Begin function _ZL18rocblas_spr_kernelILi64ELi16ELi2E24rocblas_internal_val_ptrIdEPKdPdEvbbiT2_T3_lllT4_lli
	.p2align	8
	.type	_ZL18rocblas_spr_kernelILi64ELi16ELi2E24rocblas_internal_val_ptrIdEPKdPdEvbbiT2_T3_lllT4_lli,@function
_ZL18rocblas_spr_kernelILi64ELi16ELi2E24rocblas_internal_val_ptrIdEPKdPdEvbbiT2_T3_lllT4_lli: ; @_ZL18rocblas_spr_kernelILi64ELi16ELi2E24rocblas_internal_val_ptrIdEPKdPdEvbbiT2_T3_lllT4_lli
; %bb.0:
	s_clause 0x1
	s_load_b32 s2, s[0:1], 0x0
	s_load_b512 s[4:19], s[0:1], 0x8
	s_wait_kmcnt 0x0
	s_bitcmp1_b32 s2, 0
	v_dual_mov_b32 v1, s4 :: v_dual_mov_b32 v2, s5
	s_cselect_b32 s2, -1, 0
	s_delay_alu instid0(SALU_CYCLE_1)
	s_and_b32 vcc_lo, exec_lo, s2
	s_cbranch_vccnz .LBB1_2
; %bb.1:
	v_dual_mov_b32 v1, s4 :: v_dual_mov_b32 v2, s5
	flat_load_b64 v[1:2], v[1:2]
.LBB1_2:
	s_mov_b32 s2, exec_lo
	s_wait_loadcnt_dscnt 0x0
	v_cmpx_neq_f64_e32 0, v[1:2]
	s_cbranch_execz .LBB1_18
; %bb.3:
	s_load_b32 s22, s[0:1], 0x48
	s_lshr_b32 s20, ttmp7, 16
	s_wait_kmcnt 0x0
	s_cmp_ge_u32 s20, s22
	s_cbranch_scc1 .LBB1_18
; %bb.4:
	s_load_b64 s[2:3], s[0:1], 0x0
	v_and_b32_e32 v3, 0x3ff, v0
	s_lshl_b64 s[0:1], s[16:17], 3
	s_lshl_b64 s[4:5], s[8:9], 3
	v_bfe_u32 v0, v0, 10, 10
	s_add_nc_u64 s[8:9], s[14:15], s[0:1]
	v_lshl_add_u32 v12, ttmp9, 7, v3
	s_wait_alu 0xfffe
	s_add_nc_u64 s[14:15], s[6:7], s[4:5]
	s_mov_b32 s21, 0
	s_delay_alu instid0(VALU_DEP_1) | instskip(SKIP_3) | instid1(VALU_DEP_4)
	v_add_nc_u32_e32 v13, 64, v12
	v_ashrrev_i32_e32 v8, 31, v12
	v_mul_lo_u32 v9, s11, v12
	v_mad_co_u64_u32 v[3:4], null, s10, v12, 0
	v_ashrrev_i32_e32 v10, 31, v13
	s_delay_alu instid0(VALU_DEP_4)
	v_mul_lo_u32 v11, s10, v8
	v_mul_lo_u32 v14, s11, v13
	s_wait_kmcnt 0x0
	s_bitcmp1_b32 s2, 8
	v_mul_lo_u32 v10, s10, v10
	s_cselect_b32 vcc_lo, -1, 0
	s_and_b32 s0, ttmp7, 0xffff
	v_cmp_gt_i32_e64 s1, s3, v13
	s_wait_alu 0xfffe
	v_lshl_add_u32 v0, s0, 4, v0
	s_lshl_b32 s0, s3, 1
	v_add3_u32 v4, v4, v11, v9
	s_wait_alu 0xfffe
	s_delay_alu instid0(VALU_DEP_2) | instskip(SKIP_3) | instid1(VALU_DEP_4)
	v_sub_nc_u32_e32 v7, s0, v0
	v_mad_co_u64_u32 v[5:6], null, v0, v0, v[0:1]
	v_sub_nc_u32_e32 v11, v12, v0
	v_cmp_gt_i32_e64 s0, s3, v12
	v_mad_co_u64_u32 v[6:7], null, v0, v7, v[0:1]
	v_mad_co_u64_u32 v[7:8], null, s10, v13, 0
	v_lshrrev_b32_e32 v15, 31, v5
	v_cmp_gt_i32_e64 s2, s3, v0
	v_cmp_ge_i32_e64 s3, v12, v0
	v_cmp_le_i32_e64 s4, v12, v0
	v_lshrrev_b32_e32 v16, 31, v6
	v_add_nc_u32_e32 v5, v5, v15
	v_add3_u32 v8, v8, v10, v14
	v_ashrrev_i32_e32 v14, 31, v0
	v_mul_lo_u32 v15, s11, v0
	v_add_nc_u32_e32 v6, v6, v16
	v_ashrrev_i32_e32 v5, 1, v5
	v_mad_co_u64_u32 v[9:10], null, s10, v0, 0
	v_mul_lo_u32 v14, s10, v14
	s_delay_alu instid0(VALU_DEP_4) | instskip(NEXT) | instid1(VALU_DEP_4)
	v_ashrrev_i32_e32 v6, 1, v6
	v_add_nc_u32_e32 v5, v5, v12
	v_cmp_le_i32_e64 s5, v0, v13
	v_cmp_le_i32_e64 s6, v13, v0
	v_lshlrev_b64_e32 v[3:4], 3, v[3:4]
	v_add_nc_u32_e32 v6, v11, v6
	s_and_b32 s7, s3, s0
	v_add3_u32 v10, v10, v14, v15
	s_and_b32 s4, s4, s2
	s_xor_b32 s10, vcc_lo, -1
	v_cndmask_b32_e32 v11, v6, v5, vcc_lo
	v_lshlrev_b64_e32 v[5:6], 3, v[7:8]
	v_lshlrev_b64_e32 v[7:8], 3, v[9:10]
	s_and_b32 s5, s5, s1
	s_and_b32 s6, s2, s6
	v_ashrrev_i32_e32 v12, 31, v11
	s_delay_alu instid0(VALU_DEP_1)
	v_lshlrev_b64_e32 v[9:10], 3, v[11:12]
	s_branch .LBB1_6
.LBB1_5:                                ;   in Loop: Header=BB1_6 Depth=1
	s_or_b32 exec_lo, exec_lo, s16
	s_add_co_i32 s20, s20, 0x10000
	s_delay_alu instid0(SALU_CYCLE_1)
	s_cmp_lt_u32 s20, s22
	s_cbranch_scc0 .LBB1_18
.LBB1_6:                                ; =>This Inner Loop Header: Depth=1
	s_wait_alu 0xfffe
	s_and_b32 vcc_lo, exec_lo, s10
	s_mov_b32 s11, 0
	s_mov_b32 s0, -1
	s_wait_alu 0xfffe
	s_cbranch_vccz .LBB1_8
; %bb.7:                                ;   in Loop: Header=BB1_6 Depth=1
	s_mov_b32 s0, 0
	s_and_b32 s11, s7, exec_lo
.LBB1_8:                                ;   in Loop: Header=BB1_6 Depth=1
	s_wait_alu 0xfffe
	s_and_not1_b32 vcc_lo, exec_lo, s0
	s_wait_alu 0xfffe
	s_cbranch_vccnz .LBB1_10
; %bb.9:                                ;   in Loop: Header=BB1_6 Depth=1
	s_and_not1_b32 s0, s11, exec_lo
	s_and_b32 s1, s4, exec_lo
	s_wait_alu 0xfffe
	s_or_b32 s11, s0, s1
.LBB1_10:                               ;   in Loop: Header=BB1_6 Depth=1
	s_mul_u64 s[0:1], s[12:13], s[20:21]
	s_mul_u64 s[16:17], s[18:19], s[20:21]
	s_wait_alu 0xfffe
	s_lshl_b64 s[0:1], s[0:1], 3
	s_wait_alu 0xfffe
	s_add_nc_u64 s[2:3], s[14:15], s[0:1]
	s_lshl_b64 s[0:1], s[16:17], 3
	s_wait_alu 0xfffe
	v_add_co_u32 v11, vcc_lo, s2, v7
	s_wait_alu 0xfffd
	v_add_co_ci_u32_e64 v12, null, s3, v8, vcc_lo
	s_add_nc_u64 s[0:1], s[8:9], s[0:1]
	s_and_saveexec_b32 s16, s11
	s_cbranch_execz .LBB1_12
; %bb.11:                               ;   in Loop: Header=BB1_6 Depth=1
	v_add_co_u32 v13, vcc_lo, s2, v3
	s_wait_alu 0xfffd
	v_add_co_ci_u32_e64 v14, null, s3, v4, vcc_lo
	s_wait_alu 0xfffe
	v_add_co_u32 v15, vcc_lo, s0, v9
	s_wait_alu 0xfffd
	v_add_co_ci_u32_e64 v16, null, s1, v10, vcc_lo
	s_clause 0x1
	global_load_b64 v[13:14], v[13:14], off
	global_load_b64 v[17:18], v[11:12], off
	;; [unrolled: 1-line block ×3, first 2 shown]
	s_wait_loadcnt 0x2
	v_mul_f64_e32 v[13:14], v[1:2], v[13:14]
	s_wait_loadcnt 0x0
	s_delay_alu instid0(VALU_DEP_1)
	v_fma_f64 v[13:14], v[13:14], v[17:18], v[19:20]
	global_store_b64 v[15:16], v[13:14], off
.LBB1_12:                               ;   in Loop: Header=BB1_6 Depth=1
	s_or_b32 exec_lo, exec_lo, s16
	s_delay_alu instid0(SALU_CYCLE_1)
	s_and_not1_b32 vcc_lo, exec_lo, s10
	s_wait_alu 0xfffe
	s_cbranch_vccnz .LBB1_14
; %bb.13:                               ;   in Loop: Header=BB1_6 Depth=1
	s_and_b32 s11, s5, exec_lo
	s_cbranch_execz .LBB1_15
	s_branch .LBB1_16
.LBB1_14:                               ;   in Loop: Header=BB1_6 Depth=1
	s_mov_b32 s11, 0
.LBB1_15:                               ;   in Loop: Header=BB1_6 Depth=1
	s_wait_alu 0xfffe
	s_and_not1_b32 s11, s11, exec_lo
	s_and_b32 s16, s6, exec_lo
	s_wait_alu 0xfffe
	s_or_b32 s11, s11, s16
.LBB1_16:                               ;   in Loop: Header=BB1_6 Depth=1
	s_wait_alu 0xfffe
	s_and_saveexec_b32 s16, s11
	s_cbranch_execz .LBB1_5
; %bb.17:                               ;   in Loop: Header=BB1_6 Depth=1
	v_add_co_u32 v13, vcc_lo, s2, v5
	s_wait_alu 0xfffd
	v_add_co_ci_u32_e64 v14, null, s3, v6, vcc_lo
	v_add_co_u32 v15, vcc_lo, s0, v9
	s_wait_alu 0xfffd
	v_add_co_ci_u32_e64 v16, null, s1, v10, vcc_lo
	s_clause 0x1
	global_load_b64 v[13:14], v[13:14], off
	global_load_b64 v[11:12], v[11:12], off
	global_load_b64 v[17:18], v[15:16], off offset:512
	s_wait_loadcnt 0x2
	v_mul_f64_e32 v[13:14], v[1:2], v[13:14]
	s_wait_loadcnt 0x0
	s_delay_alu instid0(VALU_DEP_1)
	v_fma_f64 v[11:12], v[13:14], v[11:12], v[17:18]
	global_store_b64 v[15:16], v[11:12], off offset:512
	s_branch .LBB1_5
.LBB1_18:
	s_endpgm
	.section	.rodata,"a",@progbits
	.p2align	6, 0x0
	.amdhsa_kernel _ZL18rocblas_spr_kernelILi64ELi16ELi2E24rocblas_internal_val_ptrIdEPKdPdEvbbiT2_T3_lllT4_lli
		.amdhsa_group_segment_fixed_size 0
		.amdhsa_private_segment_fixed_size 0
		.amdhsa_kernarg_size 76
		.amdhsa_user_sgpr_count 2
		.amdhsa_user_sgpr_dispatch_ptr 0
		.amdhsa_user_sgpr_queue_ptr 0
		.amdhsa_user_sgpr_kernarg_segment_ptr 1
		.amdhsa_user_sgpr_dispatch_id 0
		.amdhsa_user_sgpr_private_segment_size 0
		.amdhsa_wavefront_size32 1
		.amdhsa_uses_dynamic_stack 0
		.amdhsa_enable_private_segment 0
		.amdhsa_system_sgpr_workgroup_id_x 1
		.amdhsa_system_sgpr_workgroup_id_y 1
		.amdhsa_system_sgpr_workgroup_id_z 1
		.amdhsa_system_sgpr_workgroup_info 0
		.amdhsa_system_vgpr_workitem_id 1
		.amdhsa_next_free_vgpr 21
		.amdhsa_next_free_sgpr 23
		.amdhsa_reserve_vcc 1
		.amdhsa_float_round_mode_32 0
		.amdhsa_float_round_mode_16_64 0
		.amdhsa_float_denorm_mode_32 3
		.amdhsa_float_denorm_mode_16_64 3
		.amdhsa_fp16_overflow 0
		.amdhsa_workgroup_processor_mode 1
		.amdhsa_memory_ordered 1
		.amdhsa_forward_progress 1
		.amdhsa_inst_pref_size 8
		.amdhsa_round_robin_scheduling 0
		.amdhsa_exception_fp_ieee_invalid_op 0
		.amdhsa_exception_fp_denorm_src 0
		.amdhsa_exception_fp_ieee_div_zero 0
		.amdhsa_exception_fp_ieee_overflow 0
		.amdhsa_exception_fp_ieee_underflow 0
		.amdhsa_exception_fp_ieee_inexact 0
		.amdhsa_exception_int_div_zero 0
	.end_amdhsa_kernel
	.section	.text._ZL18rocblas_spr_kernelILi64ELi16ELi2E24rocblas_internal_val_ptrIdEPKdPdEvbbiT2_T3_lllT4_lli,"axG",@progbits,_ZL18rocblas_spr_kernelILi64ELi16ELi2E24rocblas_internal_val_ptrIdEPKdPdEvbbiT2_T3_lllT4_lli,comdat
.Lfunc_end1:
	.size	_ZL18rocblas_spr_kernelILi64ELi16ELi2E24rocblas_internal_val_ptrIdEPKdPdEvbbiT2_T3_lllT4_lli, .Lfunc_end1-_ZL18rocblas_spr_kernelILi64ELi16ELi2E24rocblas_internal_val_ptrIdEPKdPdEvbbiT2_T3_lllT4_lli
                                        ; -- End function
	.set _ZL18rocblas_spr_kernelILi64ELi16ELi2E24rocblas_internal_val_ptrIdEPKdPdEvbbiT2_T3_lllT4_lli.num_vgpr, 21
	.set _ZL18rocblas_spr_kernelILi64ELi16ELi2E24rocblas_internal_val_ptrIdEPKdPdEvbbiT2_T3_lllT4_lli.num_agpr, 0
	.set _ZL18rocblas_spr_kernelILi64ELi16ELi2E24rocblas_internal_val_ptrIdEPKdPdEvbbiT2_T3_lllT4_lli.numbered_sgpr, 23
	.set _ZL18rocblas_spr_kernelILi64ELi16ELi2E24rocblas_internal_val_ptrIdEPKdPdEvbbiT2_T3_lllT4_lli.num_named_barrier, 0
	.set _ZL18rocblas_spr_kernelILi64ELi16ELi2E24rocblas_internal_val_ptrIdEPKdPdEvbbiT2_T3_lllT4_lli.private_seg_size, 0
	.set _ZL18rocblas_spr_kernelILi64ELi16ELi2E24rocblas_internal_val_ptrIdEPKdPdEvbbiT2_T3_lllT4_lli.uses_vcc, 1
	.set _ZL18rocblas_spr_kernelILi64ELi16ELi2E24rocblas_internal_val_ptrIdEPKdPdEvbbiT2_T3_lllT4_lli.uses_flat_scratch, 0
	.set _ZL18rocblas_spr_kernelILi64ELi16ELi2E24rocblas_internal_val_ptrIdEPKdPdEvbbiT2_T3_lllT4_lli.has_dyn_sized_stack, 0
	.set _ZL18rocblas_spr_kernelILi64ELi16ELi2E24rocblas_internal_val_ptrIdEPKdPdEvbbiT2_T3_lllT4_lli.has_recursion, 0
	.set _ZL18rocblas_spr_kernelILi64ELi16ELi2E24rocblas_internal_val_ptrIdEPKdPdEvbbiT2_T3_lllT4_lli.has_indirect_call, 0
	.section	.AMDGPU.csdata,"",@progbits
; Kernel info:
; codeLenInByte = 964
; TotalNumSgprs: 25
; NumVgprs: 21
; ScratchSize: 0
; MemoryBound: 1
; FloatMode: 240
; IeeeMode: 1
; LDSByteSize: 0 bytes/workgroup (compile time only)
; SGPRBlocks: 0
; VGPRBlocks: 2
; NumSGPRsForWavesPerEU: 25
; NumVGPRsForWavesPerEU: 21
; Occupancy: 16
; WaveLimiterHint : 0
; COMPUTE_PGM_RSRC2:SCRATCH_EN: 0
; COMPUTE_PGM_RSRC2:USER_SGPR: 2
; COMPUTE_PGM_RSRC2:TRAP_HANDLER: 0
; COMPUTE_PGM_RSRC2:TGID_X_EN: 1
; COMPUTE_PGM_RSRC2:TGID_Y_EN: 1
; COMPUTE_PGM_RSRC2:TGID_Z_EN: 1
; COMPUTE_PGM_RSRC2:TIDIG_COMP_CNT: 1
	.section	.text._ZL18rocblas_spr_kernelILi64ELi16ELi2E24rocblas_internal_val_ptrI19rocblas_complex_numIfEEPKS2_PS2_EvbbiT2_T3_lllT4_lli,"axG",@progbits,_ZL18rocblas_spr_kernelILi64ELi16ELi2E24rocblas_internal_val_ptrI19rocblas_complex_numIfEEPKS2_PS2_EvbbiT2_T3_lllT4_lli,comdat
	.globl	_ZL18rocblas_spr_kernelILi64ELi16ELi2E24rocblas_internal_val_ptrI19rocblas_complex_numIfEEPKS2_PS2_EvbbiT2_T3_lllT4_lli ; -- Begin function _ZL18rocblas_spr_kernelILi64ELi16ELi2E24rocblas_internal_val_ptrI19rocblas_complex_numIfEEPKS2_PS2_EvbbiT2_T3_lllT4_lli
	.p2align	8
	.type	_ZL18rocblas_spr_kernelILi64ELi16ELi2E24rocblas_internal_val_ptrI19rocblas_complex_numIfEEPKS2_PS2_EvbbiT2_T3_lllT4_lli,@function
_ZL18rocblas_spr_kernelILi64ELi16ELi2E24rocblas_internal_val_ptrI19rocblas_complex_numIfEEPKS2_PS2_EvbbiT2_T3_lllT4_lli: ; @_ZL18rocblas_spr_kernelILi64ELi16ELi2E24rocblas_internal_val_ptrI19rocblas_complex_numIfEEPKS2_PS2_EvbbiT2_T3_lllT4_lli
; %bb.0:
	s_clause 0x1
	s_load_b32 s2, s[0:1], 0x0
	s_load_b512 s[4:19], s[0:1], 0x8
	s_wait_kmcnt 0x0
	s_bitcmp0_b32 s2, 0
	s_mov_b32 s2, 0
	s_cbranch_scc0 .LBB2_2
; %bb.1:
	s_load_b64 s[20:21], s[4:5], 0x0
	s_and_not1_b32 vcc_lo, exec_lo, s2
	s_cbranch_vccz .LBB2_3
	s_branch .LBB2_4
.LBB2_2:
                                        ; implicit-def: $sgpr20
.LBB2_3:
	s_wait_kmcnt 0x0
	s_mov_b32 s21, s5
	s_mov_b32 s20, s4
.LBB2_4:
	s_wait_kmcnt 0x0
	s_cmp_neq_f32 s20, 0
	s_cselect_b32 s2, -1, 0
	s_cmp_neq_f32 s21, 0
	s_cselect_b32 s3, -1, 0
	s_delay_alu instid0(SALU_CYCLE_1) | instskip(NEXT) | instid1(SALU_CYCLE_1)
	s_or_b32 s2, s2, s3
	s_and_not1_b32 vcc_lo, exec_lo, s2
	s_cbranch_vccnz .LBB2_20
; %bb.5:
	s_load_b32 s24, s[0:1], 0x48
	s_lshr_b32 s22, ttmp7, 16
	s_wait_kmcnt 0x0
	s_cmp_ge_u32 s22, s24
	s_cbranch_scc1 .LBB2_20
; %bb.6:
	s_load_b64 s[2:3], s[0:1], 0x0
	v_and_b32_e32 v1, 0x3ff, v0
	s_lshl_b64 s[0:1], s[16:17], 3
	s_lshl_b64 s[4:5], s[8:9], 3
	v_bfe_u32 v0, v0, 10, 10
	s_add_nc_u64 s[8:9], s[14:15], s[0:1]
	v_lshl_add_u32 v10, ttmp9, 7, v1
	s_add_nc_u64 s[14:15], s[6:7], s[4:5]
	s_mov_b32 s23, 0
	s_delay_alu instid0(VALU_DEP_1) | instskip(SKIP_2) | instid1(VALU_DEP_3)
	v_add_nc_u32_e32 v11, 64, v10
	v_ashrrev_i32_e32 v6, 31, v10
	v_mul_lo_u32 v7, s11, v10
	v_ashrrev_i32_e32 v8, 31, v11
	s_delay_alu instid0(VALU_DEP_3)
	v_mul_lo_u32 v9, s10, v6
	v_mul_lo_u32 v12, s11, v11
	s_wait_kmcnt 0x0
	s_bitcmp1_b32 s2, 8
	v_mul_lo_u32 v8, s10, v8
	s_cselect_b32 vcc_lo, -1, 0
	s_and_b32 s0, ttmp7, 0xffff
	v_cmp_gt_i32_e64 s1, s3, v11
	s_wait_alu 0xfffe
	v_lshl_add_u32 v2, s0, 4, v0
	s_lshl_b32 s0, s3, 1
	v_mad_co_u64_u32 v[0:1], null, s10, v10, 0
	s_delay_alu instid0(VALU_DEP_2)
	v_mad_co_u64_u32 v[3:4], null, v2, v2, v[2:3]
	s_wait_alu 0xfffe
	v_sub_nc_u32_e32 v5, s0, v2
	v_cmp_gt_i32_e64 s0, s3, v10
	v_cmp_gt_i32_e64 s2, s3, v2
	v_add3_u32 v1, v1, v9, v7
	v_sub_nc_u32_e32 v9, v10, v2
	v_cmp_ge_i32_e64 s3, v10, v2
	v_mad_co_u64_u32 v[4:5], null, v2, v5, v[2:3]
	v_lshrrev_b32_e32 v13, 31, v3
	v_mad_co_u64_u32 v[5:6], null, s10, v11, 0
	v_cmp_le_i32_e64 s4, v10, v2
	v_cmp_le_i32_e64 s5, v2, v11
	s_delay_alu instid0(VALU_DEP_4)
	v_add_nc_u32_e32 v3, v3, v13
	v_lshrrev_b32_e32 v14, 31, v4
	v_mul_lo_u32 v13, s11, v2
	v_cmp_le_i32_e64 s6, v11, v2
	v_add3_u32 v6, v6, v8, v12
	v_ashrrev_i32_e32 v3, 1, v3
	v_add_nc_u32_e32 v4, v4, v14
	v_ashrrev_i32_e32 v12, 31, v2
	v_mad_co_u64_u32 v[7:8], null, s10, v2, 0
	s_delay_alu instid0(VALU_DEP_4) | instskip(NEXT) | instid1(VALU_DEP_4)
	v_add_nc_u32_e32 v3, v3, v10
	v_ashrrev_i32_e32 v4, 1, v4
	s_delay_alu instid0(VALU_DEP_4)
	v_mul_lo_u32 v12, s10, v12
	v_lshlrev_b64_e32 v[0:1], 3, v[0:1]
	s_and_b32 s7, s3, s0
	s_and_b32 s4, s4, s2
	v_add_nc_u32_e32 v4, v9, v4
	s_xor_b32 s10, vcc_lo, -1
	s_and_b32 s5, s5, s1
	s_and_b32 s6, s2, s6
	v_add3_u32 v8, v8, v12, v13
	v_cndmask_b32_e32 v9, v4, v3, vcc_lo
	v_lshlrev_b64_e32 v[2:3], 3, v[5:6]
	s_delay_alu instid0(VALU_DEP_3) | instskip(NEXT) | instid1(VALU_DEP_3)
	v_lshlrev_b64_e32 v[4:5], 3, v[7:8]
	v_ashrrev_i32_e32 v10, 31, v9
	s_delay_alu instid0(VALU_DEP_1)
	v_lshlrev_b64_e32 v[6:7], 3, v[9:10]
	s_branch .LBB2_8
.LBB2_7:                                ;   in Loop: Header=BB2_8 Depth=1
	s_wait_alu 0xfffe
	s_or_b32 exec_lo, exec_lo, s11
	s_add_co_i32 s22, s22, 0x10000
	s_delay_alu instid0(SALU_CYCLE_1)
	s_cmp_lt_u32 s22, s24
	s_cbranch_scc0 .LBB2_20
.LBB2_8:                                ; =>This Inner Loop Header: Depth=1
	s_wait_alu 0xfffe
	s_and_b32 vcc_lo, exec_lo, s10
	s_mov_b32 s11, 0
	s_mov_b32 s0, -1
	s_wait_alu 0xfffe
	s_cbranch_vccz .LBB2_10
; %bb.9:                                ;   in Loop: Header=BB2_8 Depth=1
	s_mov_b32 s0, 0
	s_and_b32 s11, s7, exec_lo
.LBB2_10:                               ;   in Loop: Header=BB2_8 Depth=1
	s_wait_alu 0xfffe
	s_and_not1_b32 vcc_lo, exec_lo, s0
	s_wait_alu 0xfffe
	s_cbranch_vccnz .LBB2_12
; %bb.11:                               ;   in Loop: Header=BB2_8 Depth=1
	s_and_not1_b32 s0, s11, exec_lo
	s_and_b32 s1, s4, exec_lo
	s_wait_alu 0xfffe
	s_or_b32 s11, s0, s1
.LBB2_12:                               ;   in Loop: Header=BB2_8 Depth=1
	s_mul_u64 s[0:1], s[12:13], s[22:23]
	s_mul_u64 s[16:17], s[18:19], s[22:23]
	s_wait_alu 0xfffe
	s_lshl_b64 s[0:1], s[0:1], 3
	s_wait_alu 0xfffe
	s_add_nc_u64 s[2:3], s[14:15], s[0:1]
	s_lshl_b64 s[0:1], s[16:17], 3
	s_wait_alu 0xfffe
	v_add_co_u32 v8, vcc_lo, s2, v4
	s_wait_alu 0xfffd
	v_add_co_ci_u32_e64 v9, null, s3, v5, vcc_lo
	s_add_nc_u64 s[0:1], s[8:9], s[0:1]
	s_and_saveexec_b32 s16, s11
	s_cbranch_execz .LBB2_14
; %bb.13:                               ;   in Loop: Header=BB2_8 Depth=1
	v_add_co_u32 v10, vcc_lo, s2, v0
	s_wait_alu 0xfffd
	v_add_co_ci_u32_e64 v11, null, s3, v1, vcc_lo
	s_wait_alu 0xfffe
	v_add_co_u32 v14, vcc_lo, s0, v6
	s_wait_alu 0xfffd
	v_add_co_ci_u32_e64 v15, null, s1, v7, vcc_lo
	s_clause 0x1
	global_load_b64 v[10:11], v[10:11], off
	global_load_b64 v[12:13], v[8:9], off
	;; [unrolled: 1-line block ×3, first 2 shown]
	s_wait_loadcnt 0x2
	v_mul_f32_e32 v18, s20, v11
	s_delay_alu instid0(VALU_DEP_1) | instskip(NEXT) | instid1(VALU_DEP_1)
	v_dual_mul_f32 v11, s21, v11 :: v_dual_fmac_f32 v18, s21, v10
	v_fma_f32 v10, s20, v10, -v11
	s_wait_loadcnt 0x1
	s_delay_alu instid0(VALU_DEP_2) | instskip(SKIP_1) | instid1(VALU_DEP_2)
	v_mul_f32_e32 v11, v13, v18
	v_mul_f32_e32 v18, v12, v18
	v_fma_f32 v11, v12, v10, -v11
	s_delay_alu instid0(VALU_DEP_2) | instskip(SKIP_1) | instid1(VALU_DEP_1)
	v_fmac_f32_e32 v18, v13, v10
	s_wait_loadcnt 0x0
	v_dual_add_f32 v10, v16, v11 :: v_dual_add_f32 v11, v18, v17
	global_store_b64 v[14:15], v[10:11], off
.LBB2_14:                               ;   in Loop: Header=BB2_8 Depth=1
	s_or_b32 exec_lo, exec_lo, s16
	s_delay_alu instid0(SALU_CYCLE_1)
	s_and_not1_b32 vcc_lo, exec_lo, s10
	s_wait_alu 0xfffe
	s_cbranch_vccnz .LBB2_16
; %bb.15:                               ;   in Loop: Header=BB2_8 Depth=1
	s_and_b32 s16, s5, exec_lo
	s_cbranch_execz .LBB2_17
	s_branch .LBB2_18
.LBB2_16:                               ;   in Loop: Header=BB2_8 Depth=1
	s_mov_b32 s16, 0
.LBB2_17:                               ;   in Loop: Header=BB2_8 Depth=1
	s_delay_alu instid0(SALU_CYCLE_1)
	s_and_not1_b32 s11, s16, exec_lo
	s_and_b32 s16, s6, exec_lo
	s_wait_alu 0xfffe
	s_or_b32 s16, s11, s16
.LBB2_18:                               ;   in Loop: Header=BB2_8 Depth=1
	s_delay_alu instid0(SALU_CYCLE_1)
	s_and_saveexec_b32 s11, s16
	s_cbranch_execz .LBB2_7
; %bb.19:                               ;   in Loop: Header=BB2_8 Depth=1
	v_add_co_u32 v10, vcc_lo, s2, v2
	s_wait_alu 0xfffd
	v_add_co_ci_u32_e64 v11, null, s3, v3, vcc_lo
	v_add_co_u32 v12, vcc_lo, s0, v6
	s_wait_alu 0xfffd
	v_add_co_ci_u32_e64 v13, null, s1, v7, vcc_lo
	s_clause 0x1
	global_load_b64 v[10:11], v[10:11], off
	global_load_b64 v[8:9], v[8:9], off
	global_load_b64 v[14:15], v[12:13], off offset:512
	s_wait_loadcnt 0x2
	v_mul_f32_e32 v16, s20, v11
	s_delay_alu instid0(VALU_DEP_1) | instskip(NEXT) | instid1(VALU_DEP_1)
	v_dual_mul_f32 v11, s21, v11 :: v_dual_fmac_f32 v16, s21, v10
	v_fma_f32 v10, s20, v10, -v11
	s_wait_loadcnt 0x1
	s_delay_alu instid0(VALU_DEP_2) | instskip(SKIP_1) | instid1(VALU_DEP_2)
	v_mul_f32_e32 v11, v9, v16
	v_mul_f32_e32 v16, v8, v16
	v_fma_f32 v8, v8, v10, -v11
	s_delay_alu instid0(VALU_DEP_2) | instskip(SKIP_1) | instid1(VALU_DEP_1)
	v_fmac_f32_e32 v16, v9, v10
	s_wait_loadcnt 0x0
	v_dual_add_f32 v8, v14, v8 :: v_dual_add_f32 v9, v16, v15
	global_store_b64 v[12:13], v[8:9], off offset:512
	s_branch .LBB2_7
.LBB2_20:
	s_endpgm
	.section	.rodata,"a",@progbits
	.p2align	6, 0x0
	.amdhsa_kernel _ZL18rocblas_spr_kernelILi64ELi16ELi2E24rocblas_internal_val_ptrI19rocblas_complex_numIfEEPKS2_PS2_EvbbiT2_T3_lllT4_lli
		.amdhsa_group_segment_fixed_size 0
		.amdhsa_private_segment_fixed_size 0
		.amdhsa_kernarg_size 76
		.amdhsa_user_sgpr_count 2
		.amdhsa_user_sgpr_dispatch_ptr 0
		.amdhsa_user_sgpr_queue_ptr 0
		.amdhsa_user_sgpr_kernarg_segment_ptr 1
		.amdhsa_user_sgpr_dispatch_id 0
		.amdhsa_user_sgpr_private_segment_size 0
		.amdhsa_wavefront_size32 1
		.amdhsa_uses_dynamic_stack 0
		.amdhsa_enable_private_segment 0
		.amdhsa_system_sgpr_workgroup_id_x 1
		.amdhsa_system_sgpr_workgroup_id_y 1
		.amdhsa_system_sgpr_workgroup_id_z 1
		.amdhsa_system_sgpr_workgroup_info 0
		.amdhsa_system_vgpr_workitem_id 1
		.amdhsa_next_free_vgpr 19
		.amdhsa_next_free_sgpr 25
		.amdhsa_reserve_vcc 1
		.amdhsa_float_round_mode_32 0
		.amdhsa_float_round_mode_16_64 0
		.amdhsa_float_denorm_mode_32 3
		.amdhsa_float_denorm_mode_16_64 3
		.amdhsa_fp16_overflow 0
		.amdhsa_workgroup_processor_mode 1
		.amdhsa_memory_ordered 1
		.amdhsa_forward_progress 1
		.amdhsa_inst_pref_size 9
		.amdhsa_round_robin_scheduling 0
		.amdhsa_exception_fp_ieee_invalid_op 0
		.amdhsa_exception_fp_denorm_src 0
		.amdhsa_exception_fp_ieee_div_zero 0
		.amdhsa_exception_fp_ieee_overflow 0
		.amdhsa_exception_fp_ieee_underflow 0
		.amdhsa_exception_fp_ieee_inexact 0
		.amdhsa_exception_int_div_zero 0
	.end_amdhsa_kernel
	.section	.text._ZL18rocblas_spr_kernelILi64ELi16ELi2E24rocblas_internal_val_ptrI19rocblas_complex_numIfEEPKS2_PS2_EvbbiT2_T3_lllT4_lli,"axG",@progbits,_ZL18rocblas_spr_kernelILi64ELi16ELi2E24rocblas_internal_val_ptrI19rocblas_complex_numIfEEPKS2_PS2_EvbbiT2_T3_lllT4_lli,comdat
.Lfunc_end2:
	.size	_ZL18rocblas_spr_kernelILi64ELi16ELi2E24rocblas_internal_val_ptrI19rocblas_complex_numIfEEPKS2_PS2_EvbbiT2_T3_lllT4_lli, .Lfunc_end2-_ZL18rocblas_spr_kernelILi64ELi16ELi2E24rocblas_internal_val_ptrI19rocblas_complex_numIfEEPKS2_PS2_EvbbiT2_T3_lllT4_lli
                                        ; -- End function
	.set _ZL18rocblas_spr_kernelILi64ELi16ELi2E24rocblas_internal_val_ptrI19rocblas_complex_numIfEEPKS2_PS2_EvbbiT2_T3_lllT4_lli.num_vgpr, 19
	.set _ZL18rocblas_spr_kernelILi64ELi16ELi2E24rocblas_internal_val_ptrI19rocblas_complex_numIfEEPKS2_PS2_EvbbiT2_T3_lllT4_lli.num_agpr, 0
	.set _ZL18rocblas_spr_kernelILi64ELi16ELi2E24rocblas_internal_val_ptrI19rocblas_complex_numIfEEPKS2_PS2_EvbbiT2_T3_lllT4_lli.numbered_sgpr, 25
	.set _ZL18rocblas_spr_kernelILi64ELi16ELi2E24rocblas_internal_val_ptrI19rocblas_complex_numIfEEPKS2_PS2_EvbbiT2_T3_lllT4_lli.num_named_barrier, 0
	.set _ZL18rocblas_spr_kernelILi64ELi16ELi2E24rocblas_internal_val_ptrI19rocblas_complex_numIfEEPKS2_PS2_EvbbiT2_T3_lllT4_lli.private_seg_size, 0
	.set _ZL18rocblas_spr_kernelILi64ELi16ELi2E24rocblas_internal_val_ptrI19rocblas_complex_numIfEEPKS2_PS2_EvbbiT2_T3_lllT4_lli.uses_vcc, 1
	.set _ZL18rocblas_spr_kernelILi64ELi16ELi2E24rocblas_internal_val_ptrI19rocblas_complex_numIfEEPKS2_PS2_EvbbiT2_T3_lllT4_lli.uses_flat_scratch, 0
	.set _ZL18rocblas_spr_kernelILi64ELi16ELi2E24rocblas_internal_val_ptrI19rocblas_complex_numIfEEPKS2_PS2_EvbbiT2_T3_lllT4_lli.has_dyn_sized_stack, 0
	.set _ZL18rocblas_spr_kernelILi64ELi16ELi2E24rocblas_internal_val_ptrI19rocblas_complex_numIfEEPKS2_PS2_EvbbiT2_T3_lllT4_lli.has_recursion, 0
	.set _ZL18rocblas_spr_kernelILi64ELi16ELi2E24rocblas_internal_val_ptrI19rocblas_complex_numIfEEPKS2_PS2_EvbbiT2_T3_lllT4_lli.has_indirect_call, 0
	.section	.AMDGPU.csdata,"",@progbits
; Kernel info:
; codeLenInByte = 1088
; TotalNumSgprs: 27
; NumVgprs: 19
; ScratchSize: 0
; MemoryBound: 0
; FloatMode: 240
; IeeeMode: 1
; LDSByteSize: 0 bytes/workgroup (compile time only)
; SGPRBlocks: 0
; VGPRBlocks: 2
; NumSGPRsForWavesPerEU: 27
; NumVGPRsForWavesPerEU: 19
; Occupancy: 16
; WaveLimiterHint : 0
; COMPUTE_PGM_RSRC2:SCRATCH_EN: 0
; COMPUTE_PGM_RSRC2:USER_SGPR: 2
; COMPUTE_PGM_RSRC2:TRAP_HANDLER: 0
; COMPUTE_PGM_RSRC2:TGID_X_EN: 1
; COMPUTE_PGM_RSRC2:TGID_Y_EN: 1
; COMPUTE_PGM_RSRC2:TGID_Z_EN: 1
; COMPUTE_PGM_RSRC2:TIDIG_COMP_CNT: 1
	.section	.text._ZL18rocblas_spr_kernelILi64ELi16ELi1E24rocblas_internal_val_ptrI19rocblas_complex_numIdEEPKS2_PS2_EvbbiT2_T3_lllT4_lli,"axG",@progbits,_ZL18rocblas_spr_kernelILi64ELi16ELi1E24rocblas_internal_val_ptrI19rocblas_complex_numIdEEPKS2_PS2_EvbbiT2_T3_lllT4_lli,comdat
	.globl	_ZL18rocblas_spr_kernelILi64ELi16ELi1E24rocblas_internal_val_ptrI19rocblas_complex_numIdEEPKS2_PS2_EvbbiT2_T3_lllT4_lli ; -- Begin function _ZL18rocblas_spr_kernelILi64ELi16ELi1E24rocblas_internal_val_ptrI19rocblas_complex_numIdEEPKS2_PS2_EvbbiT2_T3_lllT4_lli
	.p2align	8
	.type	_ZL18rocblas_spr_kernelILi64ELi16ELi1E24rocblas_internal_val_ptrI19rocblas_complex_numIdEEPKS2_PS2_EvbbiT2_T3_lllT4_lli,@function
_ZL18rocblas_spr_kernelILi64ELi16ELi1E24rocblas_internal_val_ptrI19rocblas_complex_numIdEEPKS2_PS2_EvbbiT2_T3_lllT4_lli: ; @_ZL18rocblas_spr_kernelILi64ELi16ELi1E24rocblas_internal_val_ptrI19rocblas_complex_numIdEEPKS2_PS2_EvbbiT2_T3_lllT4_lli
; %bb.0:
	s_clause 0x1
	s_load_b32 s4, s[0:1], 0x0
	s_load_b64 s[2:3], s[0:1], 0x8
	s_wait_kmcnt 0x0
	s_bitcmp0_b32 s4, 0
	s_mov_b32 s4, 0
	s_cbranch_scc0 .LBB3_2
; %bb.1:
	s_load_b128 s[12:15], s[2:3], 0x0
	s_and_not1_b32 vcc_lo, exec_lo, s4
	s_cbranch_vccz .LBB3_3
	s_branch .LBB3_4
.LBB3_2:
                                        ; implicit-def: $sgpr14_sgpr15
.LBB3_3:
	s_wait_kmcnt 0x0
	s_load_b64 s[14:15], s[0:1], 0x10
	s_mov_b64 s[12:13], s[2:3]
.LBB3_4:
	s_wait_kmcnt 0x0
	v_cmp_neq_f64_e64 s2, s[12:13], 0
	v_cmp_neq_f64_e64 s3, s[14:15], 0
	s_or_b32 s2, s2, s3
	s_delay_alu instid0(SALU_CYCLE_1)
	s_and_not1_b32 vcc_lo, exec_lo, s2
	s_cbranch_vccnz .LBB3_14
; %bb.5:
	s_load_b32 s18, s[0:1], 0x50
	s_lshr_b32 s16, ttmp7, 16
	s_wait_kmcnt 0x0
	s_cmp_ge_u32 s16, s18
	s_cbranch_scc1 .LBB3_14
; %bb.6:
	s_clause 0x1
	s_load_b256 s[4:11], s[0:1], 0x18
	s_load_b64 s[2:3], s[0:1], 0x0
	v_bfe_u32 v1, v0, 10, 10
	v_and_b32_e32 v0, 0x3ff, v0
	s_load_b128 s[20:23], s[0:1], 0x38
	s_mov_b32 s17, 0
	s_delay_alu instid0(VALU_DEP_1)
	v_lshl_add_u32 v10, ttmp9, 6, v0
	s_wait_kmcnt 0x0
	s_lshl_b64 s[24:25], s[6:7], 4
	s_bitcmp1_b32 s2, 8
	s_load_b64 s[6:7], s[0:1], 0x48
	s_cselect_b32 vcc_lo, -1, 0
	s_and_b32 s2, ttmp7, 0xffff
	v_mul_lo_u32 v12, s9, v10
	v_lshl_add_u32 v1, s2, 4, v1
	s_lshl_b32 s2, s3, 1
	v_cmp_gt_i32_e64 s0, s3, v10
	s_add_nc_u64 s[4:5], s[4:5], s[24:25]
	s_wait_alu 0xfffe
	v_sub_nc_u32_e32 v2, s2, v1
	v_mad_u32_u24 v5, v1, v1, v1
	v_cmp_ge_i32_e64 s1, v10, v1
	v_cmp_gt_i32_e64 s2, s3, v1
	v_cmp_le_i32_e64 s3, v10, v1
	v_mad_co_u64_u32 v[2:3], null, v1, v2, v[1:2]
	v_lshrrev_b32_e32 v6, 31, v5
	v_mad_co_u64_u32 v[3:4], null, s8, v1, 0
	s_and_b32 s0, s1, s0
	s_and_b32 s1, s3, s2
	v_add_nc_u32_e32 v0, v5, v6
	v_lshrrev_b32_e32 v7, 31, v2
	v_sub_nc_u32_e32 v6, v10, v1
	v_ashrrev_i32_e32 v5, 31, v10
	s_delay_alu instid0(VALU_DEP_3) | instskip(SKIP_2) | instid1(VALU_DEP_4)
	v_add_nc_u32_e32 v2, v2, v7
	v_ashrrev_i32_e32 v7, 1, v0
	v_mov_b32_e32 v0, v4
	v_mul_lo_u32 v11, s8, v5
	s_delay_alu instid0(VALU_DEP_4) | instskip(NEXT) | instid1(VALU_DEP_4)
	v_ashrrev_i32_e32 v2, 1, v2
	v_add_nc_u32_e32 v4, v7, v10
	s_delay_alu instid0(VALU_DEP_4) | instskip(NEXT) | instid1(VALU_DEP_3)
	v_mad_co_u64_u32 v[7:8], null, s9, v1, v[0:1]
	v_add_nc_u32_e32 v2, v6, v2
	v_mad_co_u64_u32 v[5:6], null, s8, v10, 0
	s_lshl_b64 s[8:9], s[22:23], 4
	v_cndmask_b32_e32 v8, v2, v4, vcc_lo
	v_mov_b32_e32 v4, v7
	s_wait_alu 0xfffe
	s_add_nc_u64 s[20:21], s[20:21], s[8:9]
	s_xor_b32 s8, vcc_lo, -1
	v_add3_u32 v6, v6, v11, v12
	v_ashrrev_i32_e32 v9, 31, v8
	v_lshlrev_b64_e32 v[2:3], 4, v[3:4]
	s_delay_alu instid0(VALU_DEP_3) | instskip(NEXT) | instid1(VALU_DEP_3)
	v_lshlrev_b64_e32 v[0:1], 4, v[5:6]
	v_lshlrev_b64_e32 v[7:8], 4, v[8:9]
	s_delay_alu instid0(VALU_DEP_1) | instskip(SKIP_1) | instid1(VALU_DEP_2)
	v_add_co_u32 v4, vcc_lo, s20, v7
	s_wait_alu 0xfffd
	v_add_co_ci_u32_e64 v5, null, s21, v8, vcc_lo
	s_branch .LBB3_8
.LBB3_7:                                ;   in Loop: Header=BB3_8 Depth=1
	s_wait_alu 0xfffe
	s_or_b32 exec_lo, exec_lo, s2
	s_add_co_i32 s16, s16, 0x10000
	s_delay_alu instid0(SALU_CYCLE_1)
	s_cmp_lt_u32 s16, s18
	s_cbranch_scc0 .LBB3_14
.LBB3_8:                                ; =>This Inner Loop Header: Depth=1
	s_wait_alu 0xfffe
	s_and_b32 vcc_lo, exec_lo, s8
	s_mov_b32 s3, 0
	s_mov_b32 s2, -1
	s_wait_alu 0xfffe
	s_cbranch_vccnz .LBB3_11
; %bb.9:                                ;   in Loop: Header=BB3_8 Depth=1
	s_and_not1_b32 vcc_lo, exec_lo, s2
	s_wait_alu 0xfffe
	s_cbranch_vccz .LBB3_12
.LBB3_10:                               ;   in Loop: Header=BB3_8 Depth=1
	s_wait_alu 0xfffe
	s_and_saveexec_b32 s2, s3
	s_cbranch_execz .LBB3_7
	s_branch .LBB3_13
.LBB3_11:                               ;   in Loop: Header=BB3_8 Depth=1
	s_and_b32 s3, s0, exec_lo
	s_cbranch_execnz .LBB3_10
.LBB3_12:                               ;   in Loop: Header=BB3_8 Depth=1
	s_wait_alu 0xfffe
	s_and_not1_b32 s2, s3, exec_lo
	s_and_b32 s3, s1, exec_lo
	s_wait_alu 0xfffe
	s_or_b32 s3, s2, s3
	s_wait_alu 0xfffe
	s_and_saveexec_b32 s2, s3
	s_cbranch_execz .LBB3_7
.LBB3_13:                               ;   in Loop: Header=BB3_8 Depth=1
	s_mul_u64 s[20:21], s[10:11], s[16:17]
	s_wait_alu 0xfffe
	s_lshl_b64 s[20:21], s[20:21], 4
	s_wait_alu 0xfffe
	s_add_nc_u64 s[20:21], s[4:5], s[20:21]
	s_wait_alu 0xfffe
	v_add_co_u32 v6, vcc_lo, s20, v0
	s_wait_alu 0xfffd
	v_add_co_ci_u32_e64 v7, null, s21, v1, vcc_lo
	v_add_co_u32 v10, vcc_lo, s20, v2
	s_wait_alu 0xfffd
	v_add_co_ci_u32_e64 v11, null, s21, v3, vcc_lo
	global_load_b128 v[6:9], v[6:7], off
	s_wait_kmcnt 0x0
	s_mul_u64 s[20:21], s[6:7], s[16:17]
	global_load_b128 v[10:13], v[10:11], off
	s_wait_alu 0xfffe
	s_lshl_b64 s[20:21], s[20:21], 4
	s_wait_alu 0xfffe
	v_add_co_u32 v18, vcc_lo, v4, s20
	s_wait_alu 0xfffd
	v_add_co_ci_u32_e64 v19, null, s21, v5, vcc_lo
	global_load_b128 v[14:17], v[18:19], off
	s_wait_loadcnt 0x2
	v_mul_f64_e32 v[20:21], s[12:13], v[8:9]
	v_mul_f64_e32 v[8:9], s[14:15], v[8:9]
	s_delay_alu instid0(VALU_DEP_2) | instskip(NEXT) | instid1(VALU_DEP_2)
	v_fma_f64 v[20:21], s[14:15], v[6:7], v[20:21]
	v_fma_f64 v[6:7], s[12:13], v[6:7], -v[8:9]
	s_wait_loadcnt 0x1
	s_delay_alu instid0(VALU_DEP_2) | instskip(SKIP_1) | instid1(VALU_DEP_2)
	v_mul_f64_e32 v[8:9], v[12:13], v[20:21]
	v_mul_f64_e32 v[20:21], v[10:11], v[20:21]
	v_fma_f64 v[8:9], v[10:11], v[6:7], -v[8:9]
	s_delay_alu instid0(VALU_DEP_2) | instskip(SKIP_1) | instid1(VALU_DEP_2)
	v_fma_f64 v[10:11], v[12:13], v[6:7], v[20:21]
	s_wait_loadcnt 0x0
	v_add_f64_e32 v[6:7], v[14:15], v[8:9]
	s_delay_alu instid0(VALU_DEP_2)
	v_add_f64_e32 v[8:9], v[10:11], v[16:17]
	global_store_b128 v[18:19], v[6:9], off
	s_branch .LBB3_7
.LBB3_14:
	s_endpgm
	.section	.rodata,"a",@progbits
	.p2align	6, 0x0
	.amdhsa_kernel _ZL18rocblas_spr_kernelILi64ELi16ELi1E24rocblas_internal_val_ptrI19rocblas_complex_numIdEEPKS2_PS2_EvbbiT2_T3_lllT4_lli
		.amdhsa_group_segment_fixed_size 0
		.amdhsa_private_segment_fixed_size 0
		.amdhsa_kernarg_size 84
		.amdhsa_user_sgpr_count 2
		.amdhsa_user_sgpr_dispatch_ptr 0
		.amdhsa_user_sgpr_queue_ptr 0
		.amdhsa_user_sgpr_kernarg_segment_ptr 1
		.amdhsa_user_sgpr_dispatch_id 0
		.amdhsa_user_sgpr_private_segment_size 0
		.amdhsa_wavefront_size32 1
		.amdhsa_uses_dynamic_stack 0
		.amdhsa_enable_private_segment 0
		.amdhsa_system_sgpr_workgroup_id_x 1
		.amdhsa_system_sgpr_workgroup_id_y 1
		.amdhsa_system_sgpr_workgroup_id_z 1
		.amdhsa_system_sgpr_workgroup_info 0
		.amdhsa_system_vgpr_workitem_id 1
		.amdhsa_next_free_vgpr 22
		.amdhsa_next_free_sgpr 26
		.amdhsa_reserve_vcc 1
		.amdhsa_float_round_mode_32 0
		.amdhsa_float_round_mode_16_64 0
		.amdhsa_float_denorm_mode_32 3
		.amdhsa_float_denorm_mode_16_64 3
		.amdhsa_fp16_overflow 0
		.amdhsa_workgroup_processor_mode 1
		.amdhsa_memory_ordered 1
		.amdhsa_forward_progress 1
		.amdhsa_inst_pref_size 7
		.amdhsa_round_robin_scheduling 0
		.amdhsa_exception_fp_ieee_invalid_op 0
		.amdhsa_exception_fp_denorm_src 0
		.amdhsa_exception_fp_ieee_div_zero 0
		.amdhsa_exception_fp_ieee_overflow 0
		.amdhsa_exception_fp_ieee_underflow 0
		.amdhsa_exception_fp_ieee_inexact 0
		.amdhsa_exception_int_div_zero 0
	.end_amdhsa_kernel
	.section	.text._ZL18rocblas_spr_kernelILi64ELi16ELi1E24rocblas_internal_val_ptrI19rocblas_complex_numIdEEPKS2_PS2_EvbbiT2_T3_lllT4_lli,"axG",@progbits,_ZL18rocblas_spr_kernelILi64ELi16ELi1E24rocblas_internal_val_ptrI19rocblas_complex_numIdEEPKS2_PS2_EvbbiT2_T3_lllT4_lli,comdat
.Lfunc_end3:
	.size	_ZL18rocblas_spr_kernelILi64ELi16ELi1E24rocblas_internal_val_ptrI19rocblas_complex_numIdEEPKS2_PS2_EvbbiT2_T3_lllT4_lli, .Lfunc_end3-_ZL18rocblas_spr_kernelILi64ELi16ELi1E24rocblas_internal_val_ptrI19rocblas_complex_numIdEEPKS2_PS2_EvbbiT2_T3_lllT4_lli
                                        ; -- End function
	.set _ZL18rocblas_spr_kernelILi64ELi16ELi1E24rocblas_internal_val_ptrI19rocblas_complex_numIdEEPKS2_PS2_EvbbiT2_T3_lllT4_lli.num_vgpr, 22
	.set _ZL18rocblas_spr_kernelILi64ELi16ELi1E24rocblas_internal_val_ptrI19rocblas_complex_numIdEEPKS2_PS2_EvbbiT2_T3_lllT4_lli.num_agpr, 0
	.set _ZL18rocblas_spr_kernelILi64ELi16ELi1E24rocblas_internal_val_ptrI19rocblas_complex_numIdEEPKS2_PS2_EvbbiT2_T3_lllT4_lli.numbered_sgpr, 26
	.set _ZL18rocblas_spr_kernelILi64ELi16ELi1E24rocblas_internal_val_ptrI19rocblas_complex_numIdEEPKS2_PS2_EvbbiT2_T3_lllT4_lli.num_named_barrier, 0
	.set _ZL18rocblas_spr_kernelILi64ELi16ELi1E24rocblas_internal_val_ptrI19rocblas_complex_numIdEEPKS2_PS2_EvbbiT2_T3_lllT4_lli.private_seg_size, 0
	.set _ZL18rocblas_spr_kernelILi64ELi16ELi1E24rocblas_internal_val_ptrI19rocblas_complex_numIdEEPKS2_PS2_EvbbiT2_T3_lllT4_lli.uses_vcc, 1
	.set _ZL18rocblas_spr_kernelILi64ELi16ELi1E24rocblas_internal_val_ptrI19rocblas_complex_numIdEEPKS2_PS2_EvbbiT2_T3_lllT4_lli.uses_flat_scratch, 0
	.set _ZL18rocblas_spr_kernelILi64ELi16ELi1E24rocblas_internal_val_ptrI19rocblas_complex_numIdEEPKS2_PS2_EvbbiT2_T3_lllT4_lli.has_dyn_sized_stack, 0
	.set _ZL18rocblas_spr_kernelILi64ELi16ELi1E24rocblas_internal_val_ptrI19rocblas_complex_numIdEEPKS2_PS2_EvbbiT2_T3_lllT4_lli.has_recursion, 0
	.set _ZL18rocblas_spr_kernelILi64ELi16ELi1E24rocblas_internal_val_ptrI19rocblas_complex_numIdEEPKS2_PS2_EvbbiT2_T3_lllT4_lli.has_indirect_call, 0
	.section	.AMDGPU.csdata,"",@progbits
; Kernel info:
; codeLenInByte = 844
; TotalNumSgprs: 28
; NumVgprs: 22
; ScratchSize: 0
; MemoryBound: 0
; FloatMode: 240
; IeeeMode: 1
; LDSByteSize: 0 bytes/workgroup (compile time only)
; SGPRBlocks: 0
; VGPRBlocks: 2
; NumSGPRsForWavesPerEU: 28
; NumVGPRsForWavesPerEU: 22
; Occupancy: 16
; WaveLimiterHint : 0
; COMPUTE_PGM_RSRC2:SCRATCH_EN: 0
; COMPUTE_PGM_RSRC2:USER_SGPR: 2
; COMPUTE_PGM_RSRC2:TRAP_HANDLER: 0
; COMPUTE_PGM_RSRC2:TGID_X_EN: 1
; COMPUTE_PGM_RSRC2:TGID_Y_EN: 1
; COMPUTE_PGM_RSRC2:TGID_Z_EN: 1
; COMPUTE_PGM_RSRC2:TIDIG_COMP_CNT: 1
	.section	.text._ZL18rocblas_spr_kernelILi64ELi16ELi2E24rocblas_internal_val_ptrIfEPKPKfPKPfEvbbiT2_T3_lllT4_lli,"axG",@progbits,_ZL18rocblas_spr_kernelILi64ELi16ELi2E24rocblas_internal_val_ptrIfEPKPKfPKPfEvbbiT2_T3_lllT4_lli,comdat
	.globl	_ZL18rocblas_spr_kernelILi64ELi16ELi2E24rocblas_internal_val_ptrIfEPKPKfPKPfEvbbiT2_T3_lllT4_lli ; -- Begin function _ZL18rocblas_spr_kernelILi64ELi16ELi2E24rocblas_internal_val_ptrIfEPKPKfPKPfEvbbiT2_T3_lllT4_lli
	.p2align	8
	.type	_ZL18rocblas_spr_kernelILi64ELi16ELi2E24rocblas_internal_val_ptrIfEPKPKfPKPfEvbbiT2_T3_lllT4_lli,@function
_ZL18rocblas_spr_kernelILi64ELi16ELi2E24rocblas_internal_val_ptrIfEPKPKfPKPfEvbbiT2_T3_lllT4_lli: ; @_ZL18rocblas_spr_kernelILi64ELi16ELi2E24rocblas_internal_val_ptrIfEPKPKfPKPfEvbbiT2_T3_lllT4_lli
; %bb.0:
	s_clause 0x1
	s_load_b32 s2, s[0:1], 0x0
	s_load_b256 s[8:15], s[0:1], 0x8
	s_wait_kmcnt 0x0
	s_bitcmp0_b32 s2, 0
	s_mov_b32 s2, 0
	s_cbranch_scc0 .LBB4_2
; %bb.1:
	s_load_b32 s20, s[8:9], 0x0
	s_and_not1_b32 vcc_lo, exec_lo, s2
	s_cbranch_vccz .LBB4_3
	s_branch .LBB4_4
.LBB4_2:
                                        ; implicit-def: $sgpr20
.LBB4_3:
	s_wait_kmcnt 0x0
	s_mov_b32 s20, s8
.LBB4_4:
	s_wait_kmcnt 0x0
	s_cmp_eq_f32 s20, 0
	s_cbranch_scc1 .LBB4_20
; %bb.5:
	s_load_b32 s21, s[0:1], 0x48
	s_lshr_b32 s8, ttmp7, 16
	s_wait_kmcnt 0x0
	s_cmp_ge_u32 s8, s21
	s_cbranch_scc1 .LBB4_20
; %bb.6:
	s_clause 0x1
	s_load_b64 s[2:3], s[0:1], 0x0
	s_load_b128 s[16:19], s[0:1], 0x30
	v_and_b32_e32 v1, 0x3ff, v0
	v_bfe_u32 v0, v0, 10, 10
	s_mov_b32 s9, 0
	s_delay_alu instid0(VALU_DEP_2) | instskip(NEXT) | instid1(VALU_DEP_1)
	v_lshl_add_u32 v9, ttmp9, 7, v1
	v_ashrrev_i32_e32 v3, 31, v9
	v_mul_lo_u32 v7, s15, v9
	s_delay_alu instid0(VALU_DEP_2)
	v_mul_lo_u32 v8, s14, v3
	s_wait_kmcnt 0x0
	s_bitcmp1_b32 s2, 8
	s_cselect_b32 vcc_lo, -1, 0
	s_and_b32 s0, ttmp7, 0xffff
	s_xor_b32 s24, vcc_lo, -1
	s_wait_alu 0xfffe
	v_lshl_add_u32 v2, s0, 4, v0
	v_mad_co_u64_u32 v[0:1], null, s14, v9, 0
	s_lshl_b32 s0, s3, 1
	v_mad_co_u64_u32 v[3:4], null, v2, v2, v[2:3]
	s_wait_alu 0xfffe
	v_sub_nc_u32_e32 v5, s0, v2
	v_mul_lo_u32 v13, s15, v2
	v_add3_u32 v1, v1, v8, v7
	v_cmp_gt_i32_e64 s0, s3, v9
	v_cmp_gt_i32_e64 s2, s3, v2
	v_cmp_le_i32_e64 s4, v9, v2
	v_lshrrev_b32_e32 v7, 31, v3
	v_mad_co_u64_u32 v[4:5], null, v2, v5, v[2:3]
	v_lshlrev_b64_e32 v[0:1], 2, v[0:1]
	s_delay_alu instid0(VALU_DEP_3) | instskip(NEXT) | instid1(VALU_DEP_3)
	v_add_nc_u32_e32 v3, v3, v7
	v_lshrrev_b32_e32 v8, 31, v4
	s_delay_alu instid0(VALU_DEP_2) | instskip(NEXT) | instid1(VALU_DEP_2)
	v_ashrrev_i32_e32 v3, 1, v3
	v_add_nc_u32_e32 v4, v4, v8
	s_delay_alu instid0(VALU_DEP_2) | instskip(SKIP_2) | instid1(VALU_DEP_4)
	v_add_nc_u32_e32 v3, v3, v9
	v_add_nc_u32_e32 v10, 64, v9
	v_mad_co_u64_u32 v[7:8], null, s14, v2, 0
	v_ashrrev_i32_e32 v4, 1, v4
	s_delay_alu instid0(VALU_DEP_3) | instskip(SKIP_3) | instid1(VALU_DEP_4)
	v_ashrrev_i32_e32 v11, 31, v10
	v_mul_lo_u32 v12, s15, v10
	v_mad_co_u64_u32 v[5:6], null, s14, v10, 0
	v_cmp_gt_i32_e64 s1, s3, v10
	v_mul_lo_u32 v11, s14, v11
	v_cmp_ge_i32_e64 s3, v9, v2
	s_and_b32 s15, s4, s2
	v_add3_u32 v6, v6, v11, v12
	v_sub_nc_u32_e32 v11, v9, v2
	v_ashrrev_i32_e32 v12, 31, v2
	s_delay_alu instid0(VALU_DEP_2) | instskip(NEXT) | instid1(VALU_DEP_2)
	v_add_nc_u32_e32 v4, v11, v4
	v_mul_lo_u32 v11, s14, v12
	s_and_b32 s14, s3, s0
	s_delay_alu instid0(VALU_DEP_2)
	v_cndmask_b32_e32 v9, v4, v3, vcc_lo
	v_cmp_le_i32_e64 s5, v2, v10
	v_cmp_le_i32_e64 s6, v10, v2
	v_lshlrev_b64_e32 v[2:3], 2, v[5:6]
	v_add3_u32 v8, v8, v11, v13
	v_ashrrev_i32_e32 v10, 31, v9
	s_and_b32 s22, s5, s1
	s_and_b32 s23, s2, s6
	s_lshl_b64 s[0:1], s[18:19], 2
	v_lshlrev_b64_e32 v[4:5], 2, v[7:8]
	v_lshlrev_b64_e32 v[6:7], 2, v[9:10]
	s_lshl_b64 s[2:3], s[12:13], 2
	s_branch .LBB4_8
.LBB4_7:                                ;   in Loop: Header=BB4_8 Depth=1
	s_or_b32 exec_lo, exec_lo, s12
	s_add_co_i32 s8, s8, 0x10000
	s_delay_alu instid0(SALU_CYCLE_1)
	s_cmp_lt_u32 s8, s21
	s_cbranch_scc0 .LBB4_20
.LBB4_8:                                ; =>This Inner Loop Header: Depth=1
	s_and_b32 vcc_lo, exec_lo, s24
	s_mov_b32 s12, 0
	s_mov_b32 s4, -1
	s_wait_alu 0xfffe
	s_cbranch_vccz .LBB4_10
; %bb.9:                                ;   in Loop: Header=BB4_8 Depth=1
	s_mov_b32 s4, 0
	s_and_b32 s12, s14, exec_lo
.LBB4_10:                               ;   in Loop: Header=BB4_8 Depth=1
	s_wait_alu 0xfffe
	s_and_not1_b32 vcc_lo, exec_lo, s4
	s_wait_alu 0xfffe
	s_cbranch_vccnz .LBB4_12
; %bb.11:                               ;   in Loop: Header=BB4_8 Depth=1
	s_and_not1_b32 s4, s12, exec_lo
	s_and_b32 s5, s15, exec_lo
	s_wait_alu 0xfffe
	s_or_b32 s12, s4, s5
.LBB4_12:                               ;   in Loop: Header=BB4_8 Depth=1
	s_lshl_b64 s[4:5], s[8:9], 3
	s_wait_alu 0xfffe
	s_add_nc_u64 s[6:7], s[10:11], s[4:5]
	s_add_nc_u64 s[4:5], s[16:17], s[4:5]
	s_load_b64 s[6:7], s[6:7], 0x0
	s_load_b64 s[4:5], s[4:5], 0x0
	s_wait_kmcnt 0x0
	s_add_nc_u64 s[6:7], s[6:7], s[2:3]
	s_add_nc_u64 s[4:5], s[4:5], s[0:1]
	s_wait_alu 0xfffe
	v_add_co_u32 v8, vcc_lo, s6, v4
	s_wait_alu 0xfffd
	v_add_co_ci_u32_e64 v9, null, s7, v5, vcc_lo
	s_and_saveexec_b32 s13, s12
	s_cbranch_execz .LBB4_14
; %bb.13:                               ;   in Loop: Header=BB4_8 Depth=1
	v_add_co_u32 v10, vcc_lo, s6, v0
	s_wait_alu 0xfffd
	v_add_co_ci_u32_e64 v11, null, s7, v1, vcc_lo
	v_add_co_u32 v12, vcc_lo, s4, v6
	s_wait_alu 0xfffd
	v_add_co_ci_u32_e64 v13, null, s5, v7, vcc_lo
	s_clause 0x1
	flat_load_b32 v10, v[10:11]
	flat_load_b32 v11, v[8:9]
	flat_load_b32 v14, v[12:13]
	s_wait_loadcnt_dscnt 0x202
	v_mul_f32_e32 v10, s20, v10
	s_wait_loadcnt_dscnt 0x0
	s_delay_alu instid0(VALU_DEP_1)
	v_fmac_f32_e32 v14, v10, v11
	flat_store_b32 v[12:13], v14
.LBB4_14:                               ;   in Loop: Header=BB4_8 Depth=1
	s_or_b32 exec_lo, exec_lo, s13
	s_delay_alu instid0(SALU_CYCLE_1)
	s_and_not1_b32 vcc_lo, exec_lo, s24
	s_wait_alu 0xfffe
	s_cbranch_vccnz .LBB4_19
; %bb.15:                               ;   in Loop: Header=BB4_8 Depth=1
	s_and_b32 s13, s22, exec_lo
	s_cbranch_execnz .LBB4_17
.LBB4_16:                               ;   in Loop: Header=BB4_8 Depth=1
	s_and_not1_b32 s12, s13, exec_lo
	s_and_b32 s13, s23, exec_lo
	s_delay_alu instid0(SALU_CYCLE_1)
	s_or_b32 s13, s12, s13
.LBB4_17:                               ;   in Loop: Header=BB4_8 Depth=1
	s_delay_alu instid0(SALU_CYCLE_1)
	s_and_saveexec_b32 s12, s13
	s_cbranch_execz .LBB4_7
; %bb.18:                               ;   in Loop: Header=BB4_8 Depth=1
	v_add_co_u32 v10, vcc_lo, s6, v2
	s_wait_alu 0xfffd
	v_add_co_ci_u32_e64 v11, null, s7, v3, vcc_lo
	v_add_co_u32 v12, vcc_lo, s4, v6
	s_wait_alu 0xfffd
	v_add_co_ci_u32_e64 v13, null, s5, v7, vcc_lo
	s_clause 0x1
	flat_load_b32 v10, v[10:11]
	flat_load_b32 v8, v[8:9]
	flat_load_b32 v9, v[12:13] offset:256
	s_wait_loadcnt_dscnt 0x202
	v_mul_f32_e32 v10, s20, v10
	s_wait_loadcnt_dscnt 0x0
	s_delay_alu instid0(VALU_DEP_1)
	v_fmac_f32_e32 v9, v10, v8
	flat_store_b32 v[12:13], v9 offset:256
	s_branch .LBB4_7
.LBB4_19:                               ;   in Loop: Header=BB4_8 Depth=1
	s_mov_b32 s13, 0
	s_branch .LBB4_16
.LBB4_20:
	s_endpgm
	.section	.rodata,"a",@progbits
	.p2align	6, 0x0
	.amdhsa_kernel _ZL18rocblas_spr_kernelILi64ELi16ELi2E24rocblas_internal_val_ptrIfEPKPKfPKPfEvbbiT2_T3_lllT4_lli
		.amdhsa_group_segment_fixed_size 0
		.amdhsa_private_segment_fixed_size 0
		.amdhsa_kernarg_size 76
		.amdhsa_user_sgpr_count 2
		.amdhsa_user_sgpr_dispatch_ptr 0
		.amdhsa_user_sgpr_queue_ptr 0
		.amdhsa_user_sgpr_kernarg_segment_ptr 1
		.amdhsa_user_sgpr_dispatch_id 0
		.amdhsa_user_sgpr_private_segment_size 0
		.amdhsa_wavefront_size32 1
		.amdhsa_uses_dynamic_stack 0
		.amdhsa_enable_private_segment 0
		.amdhsa_system_sgpr_workgroup_id_x 1
		.amdhsa_system_sgpr_workgroup_id_y 1
		.amdhsa_system_sgpr_workgroup_id_z 1
		.amdhsa_system_sgpr_workgroup_info 0
		.amdhsa_system_vgpr_workitem_id 1
		.amdhsa_next_free_vgpr 15
		.amdhsa_next_free_sgpr 25
		.amdhsa_reserve_vcc 1
		.amdhsa_float_round_mode_32 0
		.amdhsa_float_round_mode_16_64 0
		.amdhsa_float_denorm_mode_32 3
		.amdhsa_float_denorm_mode_16_64 3
		.amdhsa_fp16_overflow 0
		.amdhsa_workgroup_processor_mode 1
		.amdhsa_memory_ordered 1
		.amdhsa_forward_progress 1
		.amdhsa_inst_pref_size 8
		.amdhsa_round_robin_scheduling 0
		.amdhsa_exception_fp_ieee_invalid_op 0
		.amdhsa_exception_fp_denorm_src 0
		.amdhsa_exception_fp_ieee_div_zero 0
		.amdhsa_exception_fp_ieee_overflow 0
		.amdhsa_exception_fp_ieee_underflow 0
		.amdhsa_exception_fp_ieee_inexact 0
		.amdhsa_exception_int_div_zero 0
	.end_amdhsa_kernel
	.section	.text._ZL18rocblas_spr_kernelILi64ELi16ELi2E24rocblas_internal_val_ptrIfEPKPKfPKPfEvbbiT2_T3_lllT4_lli,"axG",@progbits,_ZL18rocblas_spr_kernelILi64ELi16ELi2E24rocblas_internal_val_ptrIfEPKPKfPKPfEvbbiT2_T3_lllT4_lli,comdat
.Lfunc_end4:
	.size	_ZL18rocblas_spr_kernelILi64ELi16ELi2E24rocblas_internal_val_ptrIfEPKPKfPKPfEvbbiT2_T3_lllT4_lli, .Lfunc_end4-_ZL18rocblas_spr_kernelILi64ELi16ELi2E24rocblas_internal_val_ptrIfEPKPKfPKPfEvbbiT2_T3_lllT4_lli
                                        ; -- End function
	.set _ZL18rocblas_spr_kernelILi64ELi16ELi2E24rocblas_internal_val_ptrIfEPKPKfPKPfEvbbiT2_T3_lllT4_lli.num_vgpr, 15
	.set _ZL18rocblas_spr_kernelILi64ELi16ELi2E24rocblas_internal_val_ptrIfEPKPKfPKPfEvbbiT2_T3_lllT4_lli.num_agpr, 0
	.set _ZL18rocblas_spr_kernelILi64ELi16ELi2E24rocblas_internal_val_ptrIfEPKPKfPKPfEvbbiT2_T3_lllT4_lli.numbered_sgpr, 25
	.set _ZL18rocblas_spr_kernelILi64ELi16ELi2E24rocblas_internal_val_ptrIfEPKPKfPKPfEvbbiT2_T3_lllT4_lli.num_named_barrier, 0
	.set _ZL18rocblas_spr_kernelILi64ELi16ELi2E24rocblas_internal_val_ptrIfEPKPKfPKPfEvbbiT2_T3_lllT4_lli.private_seg_size, 0
	.set _ZL18rocblas_spr_kernelILi64ELi16ELi2E24rocblas_internal_val_ptrIfEPKPKfPKPfEvbbiT2_T3_lllT4_lli.uses_vcc, 1
	.set _ZL18rocblas_spr_kernelILi64ELi16ELi2E24rocblas_internal_val_ptrIfEPKPKfPKPfEvbbiT2_T3_lllT4_lli.uses_flat_scratch, 1
	.set _ZL18rocblas_spr_kernelILi64ELi16ELi2E24rocblas_internal_val_ptrIfEPKPKfPKPfEvbbiT2_T3_lllT4_lli.has_dyn_sized_stack, 0
	.set _ZL18rocblas_spr_kernelILi64ELi16ELi2E24rocblas_internal_val_ptrIfEPKPKfPKPfEvbbiT2_T3_lllT4_lli.has_recursion, 0
	.set _ZL18rocblas_spr_kernelILi64ELi16ELi2E24rocblas_internal_val_ptrIfEPKPKfPKPfEvbbiT2_T3_lllT4_lli.has_indirect_call, 0
	.section	.AMDGPU.csdata,"",@progbits
; Kernel info:
; codeLenInByte = 956
; TotalNumSgprs: 27
; NumVgprs: 15
; ScratchSize: 0
; MemoryBound: 0
; FloatMode: 240
; IeeeMode: 1
; LDSByteSize: 0 bytes/workgroup (compile time only)
; SGPRBlocks: 0
; VGPRBlocks: 1
; NumSGPRsForWavesPerEU: 27
; NumVGPRsForWavesPerEU: 15
; Occupancy: 16
; WaveLimiterHint : 1
; COMPUTE_PGM_RSRC2:SCRATCH_EN: 0
; COMPUTE_PGM_RSRC2:USER_SGPR: 2
; COMPUTE_PGM_RSRC2:TRAP_HANDLER: 0
; COMPUTE_PGM_RSRC2:TGID_X_EN: 1
; COMPUTE_PGM_RSRC2:TGID_Y_EN: 1
; COMPUTE_PGM_RSRC2:TGID_Z_EN: 1
; COMPUTE_PGM_RSRC2:TIDIG_COMP_CNT: 1
	.section	.text._ZL18rocblas_spr_kernelILi64ELi16ELi2E24rocblas_internal_val_ptrIdEPKPKdPKPdEvbbiT2_T3_lllT4_lli,"axG",@progbits,_ZL18rocblas_spr_kernelILi64ELi16ELi2E24rocblas_internal_val_ptrIdEPKPKdPKPdEvbbiT2_T3_lllT4_lli,comdat
	.globl	_ZL18rocblas_spr_kernelILi64ELi16ELi2E24rocblas_internal_val_ptrIdEPKPKdPKPdEvbbiT2_T3_lllT4_lli ; -- Begin function _ZL18rocblas_spr_kernelILi64ELi16ELi2E24rocblas_internal_val_ptrIdEPKPKdPKPdEvbbiT2_T3_lllT4_lli
	.p2align	8
	.type	_ZL18rocblas_spr_kernelILi64ELi16ELi2E24rocblas_internal_val_ptrIdEPKPKdPKPdEvbbiT2_T3_lllT4_lli,@function
_ZL18rocblas_spr_kernelILi64ELi16ELi2E24rocblas_internal_val_ptrIdEPKPKdPKPdEvbbiT2_T3_lllT4_lli: ; @_ZL18rocblas_spr_kernelILi64ELi16ELi2E24rocblas_internal_val_ptrIdEPKPKdPKPdEvbbiT2_T3_lllT4_lli
; %bb.0:
	s_clause 0x1
	s_load_b32 s2, s[0:1], 0x0
	s_load_b256 s[8:15], s[0:1], 0x8
	s_wait_kmcnt 0x0
	s_bitcmp1_b32 s2, 0
	v_dual_mov_b32 v1, s8 :: v_dual_mov_b32 v2, s9
	s_cselect_b32 s2, -1, 0
	s_delay_alu instid0(SALU_CYCLE_1)
	s_and_b32 vcc_lo, exec_lo, s2
	s_cbranch_vccnz .LBB5_2
; %bb.1:
	v_dual_mov_b32 v1, s8 :: v_dual_mov_b32 v2, s9
	flat_load_b64 v[1:2], v[1:2]
.LBB5_2:
	s_mov_b32 s2, exec_lo
	s_wait_loadcnt_dscnt 0x0
	v_cmpx_neq_f64_e32 0, v[1:2]
	s_cbranch_execz .LBB5_18
; %bb.3:
	s_load_b32 s20, s[0:1], 0x48
	s_lshr_b32 s8, ttmp7, 16
	s_wait_kmcnt 0x0
	s_wait_alu 0xfffe
	s_cmp_ge_u32 s8, s20
	s_cbranch_scc1 .LBB5_18
; %bb.4:
	s_clause 0x1
	s_load_b64 s[2:3], s[0:1], 0x0
	s_load_b128 s[16:19], s[0:1], 0x30
	v_and_b32_e32 v3, 0x3ff, v0
	v_bfe_u32 v0, v0, 10, 10
	s_mov_b32 s9, 0
	s_delay_alu instid0(VALU_DEP_2) | instskip(NEXT) | instid1(VALU_DEP_1)
	v_lshl_add_u32 v11, ttmp9, 7, v3
	v_ashrrev_i32_e32 v5, 31, v11
	v_mul_lo_u32 v9, s15, v11
	v_mad_co_u64_u32 v[3:4], null, s14, v11, 0
	s_delay_alu instid0(VALU_DEP_3)
	v_mul_lo_u32 v10, s14, v5
	s_wait_kmcnt 0x0
	s_bitcmp1_b32 s2, 8
	s_cselect_b32 vcc_lo, -1, 0
	s_and_b32 s0, ttmp7, 0xffff
	s_xor_b32 s23, vcc_lo, -1
	s_wait_alu 0xfffe
	v_lshl_add_u32 v0, s0, 4, v0
	v_add3_u32 v4, v4, v10, v9
	s_lshl_b32 s0, s3, 1
	s_delay_alu instid0(VALU_DEP_2)
	v_mad_co_u64_u32 v[5:6], null, v0, v0, v[0:1]
	s_wait_alu 0xfffe
	v_sub_nc_u32_e32 v7, s0, v0
	v_mul_lo_u32 v15, s15, v0
	v_cmp_gt_i32_e64 s0, s3, v11
	v_cmp_gt_i32_e64 s2, s3, v0
	v_cmp_le_i32_e64 s4, v11, v0
	v_mad_co_u64_u32 v[6:7], null, v0, v7, v[0:1]
	v_lshrrev_b32_e32 v9, 31, v5
	v_lshlrev_b64_e32 v[3:4], 3, v[3:4]
	s_delay_alu instid0(VALU_DEP_2) | instskip(NEXT) | instid1(VALU_DEP_4)
	v_add_nc_u32_e32 v5, v5, v9
	v_lshrrev_b32_e32 v10, 31, v6
	s_delay_alu instid0(VALU_DEP_2) | instskip(NEXT) | instid1(VALU_DEP_2)
	v_ashrrev_i32_e32 v5, 1, v5
	v_add_nc_u32_e32 v6, v6, v10
	v_mad_co_u64_u32 v[9:10], null, s14, v0, 0
	s_delay_alu instid0(VALU_DEP_3) | instskip(SKIP_1) | instid1(VALU_DEP_4)
	v_add_nc_u32_e32 v5, v5, v11
	v_add_nc_u32_e32 v12, 64, v11
	v_ashrrev_i32_e32 v6, 1, v6
	s_delay_alu instid0(VALU_DEP_2) | instskip(SKIP_3) | instid1(VALU_DEP_4)
	v_ashrrev_i32_e32 v13, 31, v12
	v_mul_lo_u32 v14, s15, v12
	v_mad_co_u64_u32 v[7:8], null, s14, v12, 0
	v_cmp_gt_i32_e64 s1, s3, v12
	v_mul_lo_u32 v13, s14, v13
	v_cmp_ge_i32_e64 s3, v11, v0
	s_and_b32 s15, s4, s2
	v_add3_u32 v8, v8, v13, v14
	v_sub_nc_u32_e32 v13, v11, v0
	v_ashrrev_i32_e32 v14, 31, v0
	s_delay_alu instid0(VALU_DEP_2) | instskip(NEXT) | instid1(VALU_DEP_2)
	v_add_nc_u32_e32 v6, v13, v6
	v_mul_lo_u32 v13, s14, v14
	s_and_b32 s14, s3, s0
	s_delay_alu instid0(VALU_DEP_2)
	v_cndmask_b32_e32 v11, v6, v5, vcc_lo
	v_cmp_le_i32_e64 s5, v0, v12
	v_cmp_le_i32_e64 s6, v12, v0
	v_lshlrev_b64_e32 v[5:6], 3, v[7:8]
	v_add3_u32 v10, v10, v13, v15
	v_ashrrev_i32_e32 v12, 31, v11
	s_and_b32 s21, s5, s1
	s_and_b32 s22, s2, s6
	s_lshl_b64 s[0:1], s[18:19], 3
	v_lshlrev_b64_e32 v[7:8], 3, v[9:10]
	v_lshlrev_b64_e32 v[9:10], 3, v[11:12]
	s_lshl_b64 s[2:3], s[12:13], 3
	s_branch .LBB5_6
.LBB5_5:                                ;   in Loop: Header=BB5_6 Depth=1
	s_or_b32 exec_lo, exec_lo, s13
	s_add_co_i32 s8, s8, 0x10000
	s_wait_alu 0xfffe
	s_cmp_lt_u32 s8, s20
	s_cbranch_scc0 .LBB5_18
.LBB5_6:                                ; =>This Inner Loop Header: Depth=1
	s_and_b32 vcc_lo, exec_lo, s23
	s_mov_b32 s12, 0
	s_mov_b32 s4, -1
	s_wait_alu 0xfffe
	s_cbranch_vccz .LBB5_8
; %bb.7:                                ;   in Loop: Header=BB5_6 Depth=1
	s_mov_b32 s4, 0
	s_and_b32 s12, s14, exec_lo
.LBB5_8:                                ;   in Loop: Header=BB5_6 Depth=1
	s_wait_alu 0xfffe
	s_and_not1_b32 vcc_lo, exec_lo, s4
	s_wait_alu 0xfffe
	s_cbranch_vccnz .LBB5_10
; %bb.9:                                ;   in Loop: Header=BB5_6 Depth=1
	s_and_not1_b32 s4, s12, exec_lo
	s_and_b32 s5, s15, exec_lo
	s_wait_alu 0xfffe
	s_or_b32 s12, s4, s5
.LBB5_10:                               ;   in Loop: Header=BB5_6 Depth=1
	s_lshl_b64 s[4:5], s[8:9], 3
	s_wait_alu 0xfffe
	s_add_nc_u64 s[6:7], s[10:11], s[4:5]
	s_add_nc_u64 s[4:5], s[16:17], s[4:5]
	s_load_b64 s[6:7], s[6:7], 0x0
	s_load_b64 s[4:5], s[4:5], 0x0
	s_wait_kmcnt 0x0
	s_add_nc_u64 s[6:7], s[6:7], s[2:3]
	s_add_nc_u64 s[4:5], s[4:5], s[0:1]
	s_wait_alu 0xfffe
	v_add_co_u32 v11, vcc_lo, s6, v7
	s_wait_alu 0xfffd
	v_add_co_ci_u32_e64 v12, null, s7, v8, vcc_lo
	s_and_saveexec_b32 s13, s12
	s_cbranch_execz .LBB5_12
; %bb.11:                               ;   in Loop: Header=BB5_6 Depth=1
	v_add_co_u32 v13, vcc_lo, s6, v3
	s_wait_alu 0xfffd
	v_add_co_ci_u32_e64 v14, null, s7, v4, vcc_lo
	v_add_co_u32 v15, vcc_lo, s4, v9
	s_wait_alu 0xfffd
	v_add_co_ci_u32_e64 v16, null, s5, v10, vcc_lo
	s_clause 0x1
	flat_load_b64 v[13:14], v[13:14]
	flat_load_b64 v[17:18], v[11:12]
	;; [unrolled: 1-line block ×3, first 2 shown]
	s_wait_loadcnt_dscnt 0x202
	v_mul_f64_e32 v[13:14], v[1:2], v[13:14]
	s_wait_loadcnt_dscnt 0x0
	s_delay_alu instid0(VALU_DEP_1)
	v_fma_f64 v[13:14], v[13:14], v[17:18], v[19:20]
	flat_store_b64 v[15:16], v[13:14]
.LBB5_12:                               ;   in Loop: Header=BB5_6 Depth=1
	s_or_b32 exec_lo, exec_lo, s13
	s_delay_alu instid0(SALU_CYCLE_1)
	s_and_not1_b32 vcc_lo, exec_lo, s23
	s_wait_alu 0xfffe
	s_cbranch_vccnz .LBB5_14
; %bb.13:                               ;   in Loop: Header=BB5_6 Depth=1
	s_and_b32 s12, s21, exec_lo
	s_cbranch_execz .LBB5_15
	s_branch .LBB5_16
.LBB5_14:                               ;   in Loop: Header=BB5_6 Depth=1
	s_mov_b32 s12, 0
.LBB5_15:                               ;   in Loop: Header=BB5_6 Depth=1
	s_delay_alu instid0(SALU_CYCLE_1) | instskip(SKIP_1) | instid1(SALU_CYCLE_1)
	s_and_not1_b32 s12, s12, exec_lo
	s_and_b32 s13, s22, exec_lo
	s_or_b32 s12, s12, s13
.LBB5_16:                               ;   in Loop: Header=BB5_6 Depth=1
	s_delay_alu instid0(SALU_CYCLE_1)
	s_and_saveexec_b32 s13, s12
	s_cbranch_execz .LBB5_5
; %bb.17:                               ;   in Loop: Header=BB5_6 Depth=1
	v_add_co_u32 v13, vcc_lo, s6, v5
	s_wait_alu 0xfffd
	v_add_co_ci_u32_e64 v14, null, s7, v6, vcc_lo
	v_add_co_u32 v15, vcc_lo, s4, v9
	s_wait_alu 0xfffd
	v_add_co_ci_u32_e64 v16, null, s5, v10, vcc_lo
	s_clause 0x1
	flat_load_b64 v[13:14], v[13:14]
	flat_load_b64 v[11:12], v[11:12]
	flat_load_b64 v[17:18], v[15:16] offset:512
	s_wait_loadcnt_dscnt 0x202
	v_mul_f64_e32 v[13:14], v[1:2], v[13:14]
	s_wait_loadcnt_dscnt 0x0
	s_delay_alu instid0(VALU_DEP_1)
	v_fma_f64 v[11:12], v[13:14], v[11:12], v[17:18]
	flat_store_b64 v[15:16], v[11:12] offset:512
	s_branch .LBB5_5
.LBB5_18:
	s_endpgm
	.section	.rodata,"a",@progbits
	.p2align	6, 0x0
	.amdhsa_kernel _ZL18rocblas_spr_kernelILi64ELi16ELi2E24rocblas_internal_val_ptrIdEPKPKdPKPdEvbbiT2_T3_lllT4_lli
		.amdhsa_group_segment_fixed_size 0
		.amdhsa_private_segment_fixed_size 0
		.amdhsa_kernarg_size 76
		.amdhsa_user_sgpr_count 2
		.amdhsa_user_sgpr_dispatch_ptr 0
		.amdhsa_user_sgpr_queue_ptr 0
		.amdhsa_user_sgpr_kernarg_segment_ptr 1
		.amdhsa_user_sgpr_dispatch_id 0
		.amdhsa_user_sgpr_private_segment_size 0
		.amdhsa_wavefront_size32 1
		.amdhsa_uses_dynamic_stack 0
		.amdhsa_enable_private_segment 0
		.amdhsa_system_sgpr_workgroup_id_x 1
		.amdhsa_system_sgpr_workgroup_id_y 1
		.amdhsa_system_sgpr_workgroup_id_z 1
		.amdhsa_system_sgpr_workgroup_info 0
		.amdhsa_system_vgpr_workitem_id 1
		.amdhsa_next_free_vgpr 21
		.amdhsa_next_free_sgpr 24
		.amdhsa_reserve_vcc 1
		.amdhsa_float_round_mode_32 0
		.amdhsa_float_round_mode_16_64 0
		.amdhsa_float_denorm_mode_32 3
		.amdhsa_float_denorm_mode_16_64 3
		.amdhsa_fp16_overflow 0
		.amdhsa_workgroup_processor_mode 1
		.amdhsa_memory_ordered 1
		.amdhsa_forward_progress 1
		.amdhsa_inst_pref_size 8
		.amdhsa_round_robin_scheduling 0
		.amdhsa_exception_fp_ieee_invalid_op 0
		.amdhsa_exception_fp_denorm_src 0
		.amdhsa_exception_fp_ieee_div_zero 0
		.amdhsa_exception_fp_ieee_overflow 0
		.amdhsa_exception_fp_ieee_underflow 0
		.amdhsa_exception_fp_ieee_inexact 0
		.amdhsa_exception_int_div_zero 0
	.end_amdhsa_kernel
	.section	.text._ZL18rocblas_spr_kernelILi64ELi16ELi2E24rocblas_internal_val_ptrIdEPKPKdPKPdEvbbiT2_T3_lllT4_lli,"axG",@progbits,_ZL18rocblas_spr_kernelILi64ELi16ELi2E24rocblas_internal_val_ptrIdEPKPKdPKPdEvbbiT2_T3_lllT4_lli,comdat
.Lfunc_end5:
	.size	_ZL18rocblas_spr_kernelILi64ELi16ELi2E24rocblas_internal_val_ptrIdEPKPKdPKPdEvbbiT2_T3_lllT4_lli, .Lfunc_end5-_ZL18rocblas_spr_kernelILi64ELi16ELi2E24rocblas_internal_val_ptrIdEPKPKdPKPdEvbbiT2_T3_lllT4_lli
                                        ; -- End function
	.set _ZL18rocblas_spr_kernelILi64ELi16ELi2E24rocblas_internal_val_ptrIdEPKPKdPKPdEvbbiT2_T3_lllT4_lli.num_vgpr, 21
	.set _ZL18rocblas_spr_kernelILi64ELi16ELi2E24rocblas_internal_val_ptrIdEPKPKdPKPdEvbbiT2_T3_lllT4_lli.num_agpr, 0
	.set _ZL18rocblas_spr_kernelILi64ELi16ELi2E24rocblas_internal_val_ptrIdEPKPKdPKPdEvbbiT2_T3_lllT4_lli.numbered_sgpr, 24
	.set _ZL18rocblas_spr_kernelILi64ELi16ELi2E24rocblas_internal_val_ptrIdEPKPKdPKPdEvbbiT2_T3_lllT4_lli.num_named_barrier, 0
	.set _ZL18rocblas_spr_kernelILi64ELi16ELi2E24rocblas_internal_val_ptrIdEPKPKdPKPdEvbbiT2_T3_lllT4_lli.private_seg_size, 0
	.set _ZL18rocblas_spr_kernelILi64ELi16ELi2E24rocblas_internal_val_ptrIdEPKPKdPKPdEvbbiT2_T3_lllT4_lli.uses_vcc, 1
	.set _ZL18rocblas_spr_kernelILi64ELi16ELi2E24rocblas_internal_val_ptrIdEPKPKdPKPdEvbbiT2_T3_lllT4_lli.uses_flat_scratch, 1
	.set _ZL18rocblas_spr_kernelILi64ELi16ELi2E24rocblas_internal_val_ptrIdEPKPKdPKPdEvbbiT2_T3_lllT4_lli.has_dyn_sized_stack, 0
	.set _ZL18rocblas_spr_kernelILi64ELi16ELi2E24rocblas_internal_val_ptrIdEPKPKdPKPdEvbbiT2_T3_lllT4_lli.has_recursion, 0
	.set _ZL18rocblas_spr_kernelILi64ELi16ELi2E24rocblas_internal_val_ptrIdEPKPKdPKPdEvbbiT2_T3_lllT4_lli.has_indirect_call, 0
	.section	.AMDGPU.csdata,"",@progbits
; Kernel info:
; codeLenInByte = 984
; TotalNumSgprs: 26
; NumVgprs: 21
; ScratchSize: 0
; MemoryBound: 1
; FloatMode: 240
; IeeeMode: 1
; LDSByteSize: 0 bytes/workgroup (compile time only)
; SGPRBlocks: 0
; VGPRBlocks: 2
; NumSGPRsForWavesPerEU: 26
; NumVGPRsForWavesPerEU: 21
; Occupancy: 16
; WaveLimiterHint : 1
; COMPUTE_PGM_RSRC2:SCRATCH_EN: 0
; COMPUTE_PGM_RSRC2:USER_SGPR: 2
; COMPUTE_PGM_RSRC2:TRAP_HANDLER: 0
; COMPUTE_PGM_RSRC2:TGID_X_EN: 1
; COMPUTE_PGM_RSRC2:TGID_Y_EN: 1
; COMPUTE_PGM_RSRC2:TGID_Z_EN: 1
; COMPUTE_PGM_RSRC2:TIDIG_COMP_CNT: 1
	.section	.text._ZL18rocblas_spr_kernelILi64ELi16ELi2E24rocblas_internal_val_ptrI19rocblas_complex_numIfEEPKPKS2_PKPS2_EvbbiT2_T3_lllT4_lli,"axG",@progbits,_ZL18rocblas_spr_kernelILi64ELi16ELi2E24rocblas_internal_val_ptrI19rocblas_complex_numIfEEPKPKS2_PKPS2_EvbbiT2_T3_lllT4_lli,comdat
	.globl	_ZL18rocblas_spr_kernelILi64ELi16ELi2E24rocblas_internal_val_ptrI19rocblas_complex_numIfEEPKPKS2_PKPS2_EvbbiT2_T3_lllT4_lli ; -- Begin function _ZL18rocblas_spr_kernelILi64ELi16ELi2E24rocblas_internal_val_ptrI19rocblas_complex_numIfEEPKPKS2_PKPS2_EvbbiT2_T3_lllT4_lli
	.p2align	8
	.type	_ZL18rocblas_spr_kernelILi64ELi16ELi2E24rocblas_internal_val_ptrI19rocblas_complex_numIfEEPKPKS2_PKPS2_EvbbiT2_T3_lllT4_lli,@function
_ZL18rocblas_spr_kernelILi64ELi16ELi2E24rocblas_internal_val_ptrI19rocblas_complex_numIfEEPKPKS2_PKPS2_EvbbiT2_T3_lllT4_lli: ; @_ZL18rocblas_spr_kernelILi64ELi16ELi2E24rocblas_internal_val_ptrI19rocblas_complex_numIfEEPKPKS2_PKPS2_EvbbiT2_T3_lllT4_lli
; %bb.0:
	s_clause 0x1
	s_load_b32 s2, s[0:1], 0x0
	s_load_b256 s[8:15], s[0:1], 0x8
	s_wait_kmcnt 0x0
	s_bitcmp0_b32 s2, 0
	s_mov_b32 s2, 0
	s_cbranch_scc0 .LBB6_2
; %bb.1:
	s_load_b64 s[20:21], s[8:9], 0x0
	s_and_not1_b32 vcc_lo, exec_lo, s2
	s_cbranch_vccz .LBB6_3
	s_branch .LBB6_4
.LBB6_2:
                                        ; implicit-def: $sgpr20
.LBB6_3:
	s_wait_kmcnt 0x0
	s_mov_b32 s21, s9
	s_mov_b32 s20, s8
.LBB6_4:
	s_wait_kmcnt 0x0
	s_cmp_neq_f32 s20, 0
	s_cselect_b32 s2, -1, 0
	s_cmp_neq_f32 s21, 0
	s_cselect_b32 s3, -1, 0
	s_delay_alu instid0(SALU_CYCLE_1) | instskip(NEXT) | instid1(SALU_CYCLE_1)
	s_or_b32 s2, s2, s3
	s_and_not1_b32 vcc_lo, exec_lo, s2
	s_cbranch_vccnz .LBB6_20
; %bb.5:
	s_load_b32 s7, s[0:1], 0x48
	s_lshr_b32 s8, ttmp7, 16
	s_wait_kmcnt 0x0
	s_cmp_ge_u32 s8, s7
	s_cbranch_scc1 .LBB6_20
; %bb.6:
	s_clause 0x1
	s_load_b64 s[2:3], s[0:1], 0x0
	s_load_b128 s[16:19], s[0:1], 0x30
	v_dual_mov_b32 v12, 0 :: v_dual_and_b32 v1, 0x3ff, v0
	v_bfe_u32 v0, v0, 10, 10
	s_mov_b32 s9, 0
	s_delay_alu instid0(VALU_DEP_2) | instskip(NEXT) | instid1(VALU_DEP_1)
	v_lshl_add_u32 v9, ttmp9, 7, v1
	v_ashrrev_i32_e32 v3, 31, v9
	v_mul_lo_u32 v7, s15, v9
	s_delay_alu instid0(VALU_DEP_2)
	v_mul_lo_u32 v8, s14, v3
	s_wait_kmcnt 0x0
	s_bitcmp1_b32 s2, 8
	s_cselect_b32 vcc_lo, -1, 0
	s_and_b32 s0, ttmp7, 0xffff
	s_wait_alu 0xfffe
	v_lshl_add_u32 v2, s0, 4, v0
	v_mad_co_u64_u32 v[0:1], null, s14, v9, 0
	s_lshl_b32 s0, s3, 1
	v_mad_co_u64_u32 v[3:4], null, v2, v2, v[2:3]
	s_wait_alu 0xfffe
	v_sub_nc_u32_e32 v5, s0, v2
	v_mul_lo_u32 v14, s15, v2
	v_add3_u32 v1, v1, v8, v7
	v_cmp_gt_i32_e64 s0, s3, v9
	v_cmp_gt_i32_e64 s2, s3, v2
	v_cmp_le_i32_e64 s4, v9, v2
	v_lshrrev_b32_e32 v7, 31, v3
	v_mad_co_u64_u32 v[4:5], null, v2, v5, v[2:3]
	v_lshlrev_b64_e32 v[0:1], 3, v[0:1]
	s_delay_alu instid0(VALU_DEP_4) | instskip(NEXT) | instid1(VALU_DEP_3)
	s_and_b32 s4, s4, s2
	v_add_nc_u32_e32 v3, v3, v7
	s_delay_alu instid0(VALU_DEP_3) | instskip(NEXT) | instid1(VALU_DEP_2)
	v_lshrrev_b32_e32 v8, 31, v4
	v_ashrrev_i32_e32 v3, 1, v3
	s_delay_alu instid0(VALU_DEP_2) | instskip(NEXT) | instid1(VALU_DEP_2)
	v_add_nc_u32_e32 v4, v4, v8
	v_add_nc_u32_e32 v3, v3, v9
	;; [unrolled: 1-line block ×3, first 2 shown]
	v_mad_co_u64_u32 v[7:8], null, s14, v2, 0
	s_delay_alu instid0(VALU_DEP_4) | instskip(NEXT) | instid1(VALU_DEP_3)
	v_ashrrev_i32_e32 v4, 1, v4
	v_ashrrev_i32_e32 v11, 31, v10
	v_mul_lo_u32 v13, s15, v10
	v_mad_co_u64_u32 v[5:6], null, s14, v10, 0
	v_cmp_gt_i32_e64 s1, s3, v10
	s_delay_alu instid0(VALU_DEP_4)
	v_mul_lo_u32 v11, s14, v11
	v_cmp_ge_i32_e64 s3, v9, v2
	s_xor_b32 s15, vcc_lo, -1
	v_add3_u32 v6, v6, v11, v13
	v_sub_nc_u32_e32 v11, v9, v2
	v_ashrrev_i32_e32 v13, 31, v2
	s_delay_alu instid0(VALU_DEP_2) | instskip(NEXT) | instid1(VALU_DEP_2)
	v_add_nc_u32_e32 v4, v11, v4
	v_mul_lo_u32 v11, s14, v13
	s_and_b32 s14, s3, s0
	s_delay_alu instid0(VALU_DEP_2)
	v_cndmask_b32_e32 v9, v4, v3, vcc_lo
	v_cmp_le_i32_e64 s5, v2, v10
	v_cmp_le_i32_e64 s6, v10, v2
	v_lshlrev_b64_e32 v[2:3], 3, v[5:6]
	v_add3_u32 v8, v8, v11, v14
	v_ashrrev_i32_e32 v10, 31, v9
	s_and_b32 s5, s5, s1
	s_and_b32 s6, s2, s6
	s_lshl_b64 s[0:1], s[18:19], 3
	v_lshlrev_b64_e32 v[4:5], 3, v[7:8]
	v_lshlrev_b64_e32 v[6:7], 3, v[9:10]
	s_lshl_b64 s[2:3], s[12:13], 3
	s_branch .LBB6_8
.LBB6_7:                                ;   in Loop: Header=BB6_8 Depth=1
	s_or_b32 exec_lo, exec_lo, s12
	s_add_co_i32 s8, s8, 0x10000
	s_delay_alu instid0(SALU_CYCLE_1)
	s_cmp_lt_u32 s8, s7
	s_cbranch_scc0 .LBB6_20
.LBB6_8:                                ; =>This Inner Loop Header: Depth=1
	s_lshl_b64 s[12:13], s[8:9], 3
	s_wait_alu 0xfffe
	s_and_b32 vcc_lo, exec_lo, s15
	s_add_nc_u64 s[18:19], s[16:17], s[12:13]
	s_add_nc_u64 s[12:13], s[10:11], s[12:13]
	s_clause 0x1
	global_load_b64 v[8:9], v12, s[18:19]
	global_load_b64 v[10:11], v12, s[12:13]
	s_mov_b32 s13, 0
	s_mov_b32 s12, -1
	s_wait_alu 0xfffe
	s_cbranch_vccz .LBB6_10
; %bb.9:                                ;   in Loop: Header=BB6_8 Depth=1
	s_mov_b32 s12, 0
	s_and_b32 s13, s14, exec_lo
.LBB6_10:                               ;   in Loop: Header=BB6_8 Depth=1
	s_and_not1_b32 vcc_lo, exec_lo, s12
	s_wait_alu 0xfffe
	s_cbranch_vccnz .LBB6_12
; %bb.11:                               ;   in Loop: Header=BB6_8 Depth=1
	s_and_not1_b32 s12, s13, exec_lo
	s_and_b32 s13, s4, exec_lo
	s_delay_alu instid0(SALU_CYCLE_1)
	s_or_b32 s13, s12, s13
.LBB6_12:                               ;   in Loop: Header=BB6_8 Depth=1
	s_wait_loadcnt 0x0
	v_add_co_u32 v13, vcc_lo, v10, s2
	s_wait_alu 0xfffd
	v_add_co_ci_u32_e64 v14, null, s3, v11, vcc_lo
	v_add_co_u32 v10, vcc_lo, v8, s0
	s_wait_alu 0xfffd
	v_add_co_ci_u32_e64 v11, null, s1, v9, vcc_lo
	;; [unrolled: 3-line block ×3, first 2 shown]
	s_and_saveexec_b32 s12, s13
	s_cbranch_execz .LBB6_14
; %bb.13:                               ;   in Loop: Header=BB6_8 Depth=1
	v_add_co_u32 v15, vcc_lo, v13, v0
	s_wait_alu 0xfffd
	v_add_co_ci_u32_e64 v16, null, v14, v1, vcc_lo
	v_add_co_u32 v19, vcc_lo, v10, v6
	s_wait_alu 0xfffd
	v_add_co_ci_u32_e64 v20, null, v11, v7, vcc_lo
	s_clause 0x1
	flat_load_b64 v[15:16], v[15:16]
	flat_load_b64 v[17:18], v[8:9]
	;; [unrolled: 1-line block ×3, first 2 shown]
	s_wait_loadcnt_dscnt 0x202
	v_mul_f32_e32 v23, s20, v16
	s_delay_alu instid0(VALU_DEP_1) | instskip(NEXT) | instid1(VALU_DEP_1)
	v_dual_mul_f32 v16, s21, v16 :: v_dual_fmac_f32 v23, s21, v15
	v_fma_f32 v15, s20, v15, -v16
	s_wait_loadcnt_dscnt 0x101
	s_delay_alu instid0(VALU_DEP_2) | instskip(SKIP_1) | instid1(VALU_DEP_2)
	v_mul_f32_e32 v16, v18, v23
	v_mul_f32_e32 v23, v17, v23
	v_fma_f32 v16, v17, v15, -v16
	s_delay_alu instid0(VALU_DEP_2) | instskip(SKIP_1) | instid1(VALU_DEP_1)
	v_fmac_f32_e32 v23, v18, v15
	s_wait_loadcnt_dscnt 0x0
	v_dual_add_f32 v15, v21, v16 :: v_dual_add_f32 v16, v23, v22
	flat_store_b64 v[19:20], v[15:16]
.LBB6_14:                               ;   in Loop: Header=BB6_8 Depth=1
	s_or_b32 exec_lo, exec_lo, s12
	s_delay_alu instid0(SALU_CYCLE_1)
	s_and_not1_b32 vcc_lo, exec_lo, s15
	s_wait_alu 0xfffe
	s_cbranch_vccnz .LBB6_16
; %bb.15:                               ;   in Loop: Header=BB6_8 Depth=1
	s_and_b32 s13, s5, exec_lo
	s_cbranch_execz .LBB6_17
	s_branch .LBB6_18
.LBB6_16:                               ;   in Loop: Header=BB6_8 Depth=1
	s_mov_b32 s13, 0
.LBB6_17:                               ;   in Loop: Header=BB6_8 Depth=1
	s_delay_alu instid0(SALU_CYCLE_1) | instskip(SKIP_1) | instid1(SALU_CYCLE_1)
	s_and_not1_b32 s12, s13, exec_lo
	s_and_b32 s13, s6, exec_lo
	s_or_b32 s13, s12, s13
.LBB6_18:                               ;   in Loop: Header=BB6_8 Depth=1
	s_delay_alu instid0(SALU_CYCLE_1)
	s_and_saveexec_b32 s12, s13
	s_cbranch_execz .LBB6_7
; %bb.19:                               ;   in Loop: Header=BB6_8 Depth=1
	v_add_co_u32 v13, vcc_lo, v13, v2
	s_wait_alu 0xfffd
	v_add_co_ci_u32_e64 v14, null, v14, v3, vcc_lo
	v_add_co_u32 v10, vcc_lo, v10, v6
	s_wait_alu 0xfffd
	v_add_co_ci_u32_e64 v11, null, v11, v7, vcc_lo
	s_clause 0x1
	flat_load_b64 v[13:14], v[13:14]
	flat_load_b64 v[8:9], v[8:9]
	flat_load_b64 v[15:16], v[10:11] offset:512
	s_wait_loadcnt_dscnt 0x202
	v_mul_f32_e32 v17, s20, v14
	s_delay_alu instid0(VALU_DEP_1) | instskip(NEXT) | instid1(VALU_DEP_1)
	v_dual_mul_f32 v14, s21, v14 :: v_dual_fmac_f32 v17, s21, v13
	v_fma_f32 v13, s20, v13, -v14
	s_wait_loadcnt_dscnt 0x101
	s_delay_alu instid0(VALU_DEP_2) | instskip(SKIP_1) | instid1(VALU_DEP_2)
	v_mul_f32_e32 v14, v9, v17
	v_mul_f32_e32 v17, v8, v17
	v_fma_f32 v8, v8, v13, -v14
	s_wait_loadcnt_dscnt 0x0
	s_delay_alu instid0(VALU_DEP_1) | instskip(NEXT) | instid1(VALU_DEP_1)
	v_dual_fmac_f32 v17, v9, v13 :: v_dual_add_f32 v8, v15, v8
	v_add_f32_e32 v9, v17, v16
	flat_store_b64 v[10:11], v[8:9] offset:512
	s_branch .LBB6_7
.LBB6_20:
	s_endpgm
	.section	.rodata,"a",@progbits
	.p2align	6, 0x0
	.amdhsa_kernel _ZL18rocblas_spr_kernelILi64ELi16ELi2E24rocblas_internal_val_ptrI19rocblas_complex_numIfEEPKPKS2_PKPS2_EvbbiT2_T3_lllT4_lli
		.amdhsa_group_segment_fixed_size 0
		.amdhsa_private_segment_fixed_size 0
		.amdhsa_kernarg_size 76
		.amdhsa_user_sgpr_count 2
		.amdhsa_user_sgpr_dispatch_ptr 0
		.amdhsa_user_sgpr_queue_ptr 0
		.amdhsa_user_sgpr_kernarg_segment_ptr 1
		.amdhsa_user_sgpr_dispatch_id 0
		.amdhsa_user_sgpr_private_segment_size 0
		.amdhsa_wavefront_size32 1
		.amdhsa_uses_dynamic_stack 0
		.amdhsa_enable_private_segment 0
		.amdhsa_system_sgpr_workgroup_id_x 1
		.amdhsa_system_sgpr_workgroup_id_y 1
		.amdhsa_system_sgpr_workgroup_id_z 1
		.amdhsa_system_sgpr_workgroup_info 0
		.amdhsa_system_vgpr_workitem_id 1
		.amdhsa_next_free_vgpr 24
		.amdhsa_next_free_sgpr 22
		.amdhsa_reserve_vcc 1
		.amdhsa_float_round_mode_32 0
		.amdhsa_float_round_mode_16_64 0
		.amdhsa_float_denorm_mode_32 3
		.amdhsa_float_denorm_mode_16_64 3
		.amdhsa_fp16_overflow 0
		.amdhsa_workgroup_processor_mode 1
		.amdhsa_memory_ordered 1
		.amdhsa_forward_progress 1
		.amdhsa_inst_pref_size 9
		.amdhsa_round_robin_scheduling 0
		.amdhsa_exception_fp_ieee_invalid_op 0
		.amdhsa_exception_fp_denorm_src 0
		.amdhsa_exception_fp_ieee_div_zero 0
		.amdhsa_exception_fp_ieee_overflow 0
		.amdhsa_exception_fp_ieee_underflow 0
		.amdhsa_exception_fp_ieee_inexact 0
		.amdhsa_exception_int_div_zero 0
	.end_amdhsa_kernel
	.section	.text._ZL18rocblas_spr_kernelILi64ELi16ELi2E24rocblas_internal_val_ptrI19rocblas_complex_numIfEEPKPKS2_PKPS2_EvbbiT2_T3_lllT4_lli,"axG",@progbits,_ZL18rocblas_spr_kernelILi64ELi16ELi2E24rocblas_internal_val_ptrI19rocblas_complex_numIfEEPKPKS2_PKPS2_EvbbiT2_T3_lllT4_lli,comdat
.Lfunc_end6:
	.size	_ZL18rocblas_spr_kernelILi64ELi16ELi2E24rocblas_internal_val_ptrI19rocblas_complex_numIfEEPKPKS2_PKPS2_EvbbiT2_T3_lllT4_lli, .Lfunc_end6-_ZL18rocblas_spr_kernelILi64ELi16ELi2E24rocblas_internal_val_ptrI19rocblas_complex_numIfEEPKPKS2_PKPS2_EvbbiT2_T3_lllT4_lli
                                        ; -- End function
	.set _ZL18rocblas_spr_kernelILi64ELi16ELi2E24rocblas_internal_val_ptrI19rocblas_complex_numIfEEPKPKS2_PKPS2_EvbbiT2_T3_lllT4_lli.num_vgpr, 24
	.set _ZL18rocblas_spr_kernelILi64ELi16ELi2E24rocblas_internal_val_ptrI19rocblas_complex_numIfEEPKPKS2_PKPS2_EvbbiT2_T3_lllT4_lli.num_agpr, 0
	.set _ZL18rocblas_spr_kernelILi64ELi16ELi2E24rocblas_internal_val_ptrI19rocblas_complex_numIfEEPKPKS2_PKPS2_EvbbiT2_T3_lllT4_lli.numbered_sgpr, 22
	.set _ZL18rocblas_spr_kernelILi64ELi16ELi2E24rocblas_internal_val_ptrI19rocblas_complex_numIfEEPKPKS2_PKPS2_EvbbiT2_T3_lllT4_lli.num_named_barrier, 0
	.set _ZL18rocblas_spr_kernelILi64ELi16ELi2E24rocblas_internal_val_ptrI19rocblas_complex_numIfEEPKPKS2_PKPS2_EvbbiT2_T3_lllT4_lli.private_seg_size, 0
	.set _ZL18rocblas_spr_kernelILi64ELi16ELi2E24rocblas_internal_val_ptrI19rocblas_complex_numIfEEPKPKS2_PKPS2_EvbbiT2_T3_lllT4_lli.uses_vcc, 1
	.set _ZL18rocblas_spr_kernelILi64ELi16ELi2E24rocblas_internal_val_ptrI19rocblas_complex_numIfEEPKPKS2_PKPS2_EvbbiT2_T3_lllT4_lli.uses_flat_scratch, 1
	.set _ZL18rocblas_spr_kernelILi64ELi16ELi2E24rocblas_internal_val_ptrI19rocblas_complex_numIfEEPKPKS2_PKPS2_EvbbiT2_T3_lllT4_lli.has_dyn_sized_stack, 0
	.set _ZL18rocblas_spr_kernelILi64ELi16ELi2E24rocblas_internal_val_ptrI19rocblas_complex_numIfEEPKPKS2_PKPS2_EvbbiT2_T3_lllT4_lli.has_recursion, 0
	.set _ZL18rocblas_spr_kernelILi64ELi16ELi2E24rocblas_internal_val_ptrI19rocblas_complex_numIfEEPKPKS2_PKPS2_EvbbiT2_T3_lllT4_lli.has_indirect_call, 0
	.section	.AMDGPU.csdata,"",@progbits
; Kernel info:
; codeLenInByte = 1132
; TotalNumSgprs: 24
; NumVgprs: 24
; ScratchSize: 0
; MemoryBound: 0
; FloatMode: 240
; IeeeMode: 1
; LDSByteSize: 0 bytes/workgroup (compile time only)
; SGPRBlocks: 0
; VGPRBlocks: 2
; NumSGPRsForWavesPerEU: 24
; NumVGPRsForWavesPerEU: 24
; Occupancy: 16
; WaveLimiterHint : 1
; COMPUTE_PGM_RSRC2:SCRATCH_EN: 0
; COMPUTE_PGM_RSRC2:USER_SGPR: 2
; COMPUTE_PGM_RSRC2:TRAP_HANDLER: 0
; COMPUTE_PGM_RSRC2:TGID_X_EN: 1
; COMPUTE_PGM_RSRC2:TGID_Y_EN: 1
; COMPUTE_PGM_RSRC2:TGID_Z_EN: 1
; COMPUTE_PGM_RSRC2:TIDIG_COMP_CNT: 1
	.section	.text._ZL18rocblas_spr_kernelILi64ELi16ELi1E24rocblas_internal_val_ptrI19rocblas_complex_numIdEEPKPKS2_PKPS2_EvbbiT2_T3_lllT4_lli,"axG",@progbits,_ZL18rocblas_spr_kernelILi64ELi16ELi1E24rocblas_internal_val_ptrI19rocblas_complex_numIdEEPKPKS2_PKPS2_EvbbiT2_T3_lllT4_lli,comdat
	.globl	_ZL18rocblas_spr_kernelILi64ELi16ELi1E24rocblas_internal_val_ptrI19rocblas_complex_numIdEEPKPKS2_PKPS2_EvbbiT2_T3_lllT4_lli ; -- Begin function _ZL18rocblas_spr_kernelILi64ELi16ELi1E24rocblas_internal_val_ptrI19rocblas_complex_numIdEEPKPKS2_PKPS2_EvbbiT2_T3_lllT4_lli
	.p2align	8
	.type	_ZL18rocblas_spr_kernelILi64ELi16ELi1E24rocblas_internal_val_ptrI19rocblas_complex_numIdEEPKPKS2_PKPS2_EvbbiT2_T3_lllT4_lli,@function
_ZL18rocblas_spr_kernelILi64ELi16ELi1E24rocblas_internal_val_ptrI19rocblas_complex_numIdEEPKPKS2_PKPS2_EvbbiT2_T3_lllT4_lli: ; @_ZL18rocblas_spr_kernelILi64ELi16ELi1E24rocblas_internal_val_ptrI19rocblas_complex_numIdEEPKPKS2_PKPS2_EvbbiT2_T3_lllT4_lli
; %bb.0:
	s_clause 0x1
	s_load_b32 s4, s[0:1], 0x0
	s_load_b64 s[2:3], s[0:1], 0x8
	s_mov_b32 s8, 0
	s_wait_kmcnt 0x0
	s_bitcmp0_b32 s4, 0
	s_cbranch_scc0 .LBB7_2
; %bb.1:
	s_load_b128 s[4:7], s[2:3], 0x0
	s_and_not1_b32 vcc_lo, exec_lo, s8
	s_cbranch_vccz .LBB7_3
	s_branch .LBB7_4
.LBB7_2:
                                        ; implicit-def: $sgpr6_sgpr7
.LBB7_3:
	s_wait_kmcnt 0x0
	s_load_b64 s[6:7], s[0:1], 0x10
	s_mov_b64 s[4:5], s[2:3]
.LBB7_4:
	s_wait_kmcnt 0x0
	v_cmp_neq_f64_e64 s2, s[4:5], 0
	v_cmp_neq_f64_e64 s3, s[6:7], 0
	s_or_b32 s2, s2, s3
	s_delay_alu instid0(SALU_CYCLE_1)
	s_and_not1_b32 vcc_lo, exec_lo, s2
	s_cbranch_vccnz .LBB7_14
; %bb.5:
	s_load_b32 s18, s[0:1], 0x50
	s_lshr_b32 s16, ttmp7, 16
	s_wait_kmcnt 0x0
	s_cmp_ge_u32 s16, s18
	s_cbranch_scc1 .LBB7_14
; %bb.6:
	s_clause 0x1
	s_load_b64 s[2:3], s[0:1], 0x0
	s_load_b128 s[8:11], s[0:1], 0x18
	v_bfe_u32 v1, v0, 10, 10
	s_clause 0x1
	s_load_b64 s[20:21], s[0:1], 0x28
	s_load_b128 s[12:15], s[0:1], 0x38
	v_and_b32_e32 v0, 0x3ff, v0
	s_mov_b32 s17, 0
	s_delay_alu instid0(VALU_DEP_1)
	v_lshl_add_u32 v9, ttmp9, 6, v0
	s_wait_kmcnt 0x0
	s_bitcmp1_b32 s2, 8
	s_cselect_b32 vcc_lo, -1, 0
	s_and_b32 s2, ttmp7, 0xffff
	s_xor_b32 s19, vcc_lo, -1
	v_lshl_add_u32 v1, s2, 4, v1
	s_lshl_b32 s2, s3, 1
	s_wait_alu 0xfffe
	s_delay_alu instid0(VALU_DEP_1)
	v_sub_nc_u32_e32 v2, s2, v1
	v_mad_u32_u24 v5, v1, v1, v1
	v_cmp_ge_i32_e64 s0, v9, v1
	v_cmp_gt_i32_e64 s1, s3, v1
	v_cmp_le_i32_e64 s2, v9, v1
	v_mad_co_u64_u32 v[2:3], null, v1, v2, v[1:2]
	v_lshrrev_b32_e32 v6, 31, v5
	v_mad_co_u64_u32 v[3:4], null, s20, v1, 0
	s_delay_alu instid0(VALU_DEP_2) | instskip(NEXT) | instid1(VALU_DEP_4)
	v_add_nc_u32_e32 v5, v5, v6
	v_lshrrev_b32_e32 v7, 31, v2
	v_ashrrev_i32_e32 v6, 31, v9
	s_delay_alu instid0(VALU_DEP_4) | instskip(NEXT) | instid1(VALU_DEP_4)
	v_mov_b32_e32 v0, v4
	v_ashrrev_i32_e32 v8, 1, v5
	s_delay_alu instid0(VALU_DEP_4) | instskip(SKIP_3) | instid1(VALU_DEP_4)
	v_add_nc_u32_e32 v2, v2, v7
	v_sub_nc_u32_e32 v7, v9, v1
	v_mul_lo_u32 v10, s20, v6
	v_mad_co_u64_u32 v[4:5], null, s21, v1, v[0:1]
	v_ashrrev_i32_e32 v2, 1, v2
	v_add_nc_u32_e32 v0, v8, v9
	v_mul_lo_u32 v8, s21, v9
	v_mad_co_u64_u32 v[5:6], null, s20, v9, 0
	s_delay_alu instid0(VALU_DEP_4) | instskip(SKIP_1) | instid1(VALU_DEP_1)
	v_add_nc_u32_e32 v2, v7, v2
	s_and_b32 s21, s2, s1
	v_cndmask_b32_e32 v7, v2, v0, vcc_lo
	s_delay_alu instid0(VALU_DEP_3)
	v_add3_u32 v6, v6, v10, v8
	v_cmp_gt_i32_e32 vcc_lo, s3, v9
	v_lshlrev_b64_e32 v[0:1], 4, v[3:4]
	s_lshl_b64 s[2:3], s[10:11], 4
	v_ashrrev_i32_e32 v8, 31, v7
	v_lshlrev_b64_e32 v[2:3], 4, v[5:6]
	s_and_b32 s20, s0, vcc_lo
	s_lshl_b64 s[0:1], s[14:15], 4
	s_delay_alu instid0(VALU_DEP_2)
	v_lshlrev_b64_e32 v[4:5], 4, v[7:8]
	s_branch .LBB7_8
.LBB7_7:                                ;   in Loop: Header=BB7_8 Depth=1
	s_or_b32 exec_lo, exec_lo, s10
	s_add_co_i32 s16, s16, 0x10000
	s_delay_alu instid0(SALU_CYCLE_1)
	s_cmp_lt_u32 s16, s18
	s_cbranch_scc0 .LBB7_14
.LBB7_8:                                ; =>This Inner Loop Header: Depth=1
	s_and_b32 vcc_lo, exec_lo, s19
	s_mov_b32 s11, 0
	s_mov_b32 s10, -1
	s_wait_alu 0xfffe
	s_cbranch_vccnz .LBB7_11
; %bb.9:                                ;   in Loop: Header=BB7_8 Depth=1
	s_and_not1_b32 vcc_lo, exec_lo, s10
	s_wait_alu 0xfffe
	s_cbranch_vccz .LBB7_12
.LBB7_10:                               ;   in Loop: Header=BB7_8 Depth=1
	s_and_saveexec_b32 s10, s11
	s_cbranch_execz .LBB7_7
	s_branch .LBB7_13
.LBB7_11:                               ;   in Loop: Header=BB7_8 Depth=1
	s_and_b32 s11, s20, exec_lo
	s_cbranch_execnz .LBB7_10
.LBB7_12:                               ;   in Loop: Header=BB7_8 Depth=1
	s_and_not1_b32 s10, s11, exec_lo
	s_and_b32 s11, s21, exec_lo
	s_delay_alu instid0(SALU_CYCLE_1) | instskip(NEXT) | instid1(SALU_CYCLE_1)
	s_or_b32 s11, s10, s11
	s_and_saveexec_b32 s10, s11
	s_cbranch_execz .LBB7_7
.LBB7_13:                               ;   in Loop: Header=BB7_8 Depth=1
	s_lshl_b64 s[14:15], s[16:17], 3
	s_wait_alu 0xfffe
	s_add_nc_u64 s[22:23], s[8:9], s[14:15]
	s_add_nc_u64 s[14:15], s[12:13], s[14:15]
	s_load_b64 s[22:23], s[22:23], 0x0
	s_load_b64 s[14:15], s[14:15], 0x0
	s_wait_kmcnt 0x0
	s_add_nc_u64 s[22:23], s[22:23], s[2:3]
	s_add_nc_u64 s[14:15], s[14:15], s[0:1]
	s_wait_alu 0xfffe
	v_add_co_u32 v6, vcc_lo, s22, v2
	s_wait_alu 0xfffd
	v_add_co_ci_u32_e64 v7, null, s23, v3, vcc_lo
	v_add_co_u32 v10, vcc_lo, s22, v0
	s_wait_alu 0xfffd
	v_add_co_ci_u32_e64 v11, null, s23, v1, vcc_lo
	flat_load_b128 v[6:9], v[6:7]
	v_add_co_u32 v18, vcc_lo, s14, v4
	flat_load_b128 v[10:13], v[10:11]
	s_wait_alu 0xfffd
	v_add_co_ci_u32_e64 v19, null, s15, v5, vcc_lo
	flat_load_b128 v[14:17], v[18:19]
	s_wait_loadcnt_dscnt 0x202
	v_mul_f64_e32 v[20:21], s[4:5], v[8:9]
	v_mul_f64_e32 v[8:9], s[6:7], v[8:9]
	s_delay_alu instid0(VALU_DEP_2) | instskip(NEXT) | instid1(VALU_DEP_2)
	v_fma_f64 v[20:21], s[6:7], v[6:7], v[20:21]
	v_fma_f64 v[6:7], s[4:5], v[6:7], -v[8:9]
	s_wait_loadcnt_dscnt 0x101
	s_delay_alu instid0(VALU_DEP_2) | instskip(SKIP_1) | instid1(VALU_DEP_2)
	v_mul_f64_e32 v[8:9], v[12:13], v[20:21]
	v_mul_f64_e32 v[20:21], v[10:11], v[20:21]
	v_fma_f64 v[8:9], v[10:11], v[6:7], -v[8:9]
	s_delay_alu instid0(VALU_DEP_2) | instskip(SKIP_1) | instid1(VALU_DEP_2)
	v_fma_f64 v[10:11], v[12:13], v[6:7], v[20:21]
	s_wait_loadcnt_dscnt 0x0
	v_add_f64_e32 v[6:7], v[14:15], v[8:9]
	s_delay_alu instid0(VALU_DEP_2)
	v_add_f64_e32 v[8:9], v[10:11], v[16:17]
	flat_store_b128 v[18:19], v[6:9]
	s_branch .LBB7_7
.LBB7_14:
	s_endpgm
	.section	.rodata,"a",@progbits
	.p2align	6, 0x0
	.amdhsa_kernel _ZL18rocblas_spr_kernelILi64ELi16ELi1E24rocblas_internal_val_ptrI19rocblas_complex_numIdEEPKPKS2_PKPS2_EvbbiT2_T3_lllT4_lli
		.amdhsa_group_segment_fixed_size 0
		.amdhsa_private_segment_fixed_size 0
		.amdhsa_kernarg_size 84
		.amdhsa_user_sgpr_count 2
		.amdhsa_user_sgpr_dispatch_ptr 0
		.amdhsa_user_sgpr_queue_ptr 0
		.amdhsa_user_sgpr_kernarg_segment_ptr 1
		.amdhsa_user_sgpr_dispatch_id 0
		.amdhsa_user_sgpr_private_segment_size 0
		.amdhsa_wavefront_size32 1
		.amdhsa_uses_dynamic_stack 0
		.amdhsa_enable_private_segment 0
		.amdhsa_system_sgpr_workgroup_id_x 1
		.amdhsa_system_sgpr_workgroup_id_y 1
		.amdhsa_system_sgpr_workgroup_id_z 1
		.amdhsa_system_sgpr_workgroup_info 0
		.amdhsa_system_vgpr_workitem_id 1
		.amdhsa_next_free_vgpr 22
		.amdhsa_next_free_sgpr 24
		.amdhsa_reserve_vcc 1
		.amdhsa_float_round_mode_32 0
		.amdhsa_float_round_mode_16_64 0
		.amdhsa_float_denorm_mode_32 3
		.amdhsa_float_denorm_mode_16_64 3
		.amdhsa_fp16_overflow 0
		.amdhsa_workgroup_processor_mode 1
		.amdhsa_memory_ordered 1
		.amdhsa_forward_progress 1
		.amdhsa_inst_pref_size 7
		.amdhsa_round_robin_scheduling 0
		.amdhsa_exception_fp_ieee_invalid_op 0
		.amdhsa_exception_fp_denorm_src 0
		.amdhsa_exception_fp_ieee_div_zero 0
		.amdhsa_exception_fp_ieee_overflow 0
		.amdhsa_exception_fp_ieee_underflow 0
		.amdhsa_exception_fp_ieee_inexact 0
		.amdhsa_exception_int_div_zero 0
	.end_amdhsa_kernel
	.section	.text._ZL18rocblas_spr_kernelILi64ELi16ELi1E24rocblas_internal_val_ptrI19rocblas_complex_numIdEEPKPKS2_PKPS2_EvbbiT2_T3_lllT4_lli,"axG",@progbits,_ZL18rocblas_spr_kernelILi64ELi16ELi1E24rocblas_internal_val_ptrI19rocblas_complex_numIdEEPKPKS2_PKPS2_EvbbiT2_T3_lllT4_lli,comdat
.Lfunc_end7:
	.size	_ZL18rocblas_spr_kernelILi64ELi16ELi1E24rocblas_internal_val_ptrI19rocblas_complex_numIdEEPKPKS2_PKPS2_EvbbiT2_T3_lllT4_lli, .Lfunc_end7-_ZL18rocblas_spr_kernelILi64ELi16ELi1E24rocblas_internal_val_ptrI19rocblas_complex_numIdEEPKPKS2_PKPS2_EvbbiT2_T3_lllT4_lli
                                        ; -- End function
	.set _ZL18rocblas_spr_kernelILi64ELi16ELi1E24rocblas_internal_val_ptrI19rocblas_complex_numIdEEPKPKS2_PKPS2_EvbbiT2_T3_lllT4_lli.num_vgpr, 22
	.set _ZL18rocblas_spr_kernelILi64ELi16ELi1E24rocblas_internal_val_ptrI19rocblas_complex_numIdEEPKPKS2_PKPS2_EvbbiT2_T3_lllT4_lli.num_agpr, 0
	.set _ZL18rocblas_spr_kernelILi64ELi16ELi1E24rocblas_internal_val_ptrI19rocblas_complex_numIdEEPKPKS2_PKPS2_EvbbiT2_T3_lllT4_lli.numbered_sgpr, 24
	.set _ZL18rocblas_spr_kernelILi64ELi16ELi1E24rocblas_internal_val_ptrI19rocblas_complex_numIdEEPKPKS2_PKPS2_EvbbiT2_T3_lllT4_lli.num_named_barrier, 0
	.set _ZL18rocblas_spr_kernelILi64ELi16ELi1E24rocblas_internal_val_ptrI19rocblas_complex_numIdEEPKPKS2_PKPS2_EvbbiT2_T3_lllT4_lli.private_seg_size, 0
	.set _ZL18rocblas_spr_kernelILi64ELi16ELi1E24rocblas_internal_val_ptrI19rocblas_complex_numIdEEPKPKS2_PKPS2_EvbbiT2_T3_lllT4_lli.uses_vcc, 1
	.set _ZL18rocblas_spr_kernelILi64ELi16ELi1E24rocblas_internal_val_ptrI19rocblas_complex_numIdEEPKPKS2_PKPS2_EvbbiT2_T3_lllT4_lli.uses_flat_scratch, 0
	.set _ZL18rocblas_spr_kernelILi64ELi16ELi1E24rocblas_internal_val_ptrI19rocblas_complex_numIdEEPKPKS2_PKPS2_EvbbiT2_T3_lllT4_lli.has_dyn_sized_stack, 0
	.set _ZL18rocblas_spr_kernelILi64ELi16ELi1E24rocblas_internal_val_ptrI19rocblas_complex_numIdEEPKPKS2_PKPS2_EvbbiT2_T3_lllT4_lli.has_recursion, 0
	.set _ZL18rocblas_spr_kernelILi64ELi16ELi1E24rocblas_internal_val_ptrI19rocblas_complex_numIdEEPKPKS2_PKPS2_EvbbiT2_T3_lllT4_lli.has_indirect_call, 0
	.section	.AMDGPU.csdata,"",@progbits
; Kernel info:
; codeLenInByte = 800
; TotalNumSgprs: 26
; NumVgprs: 22
; ScratchSize: 0
; MemoryBound: 0
; FloatMode: 240
; IeeeMode: 1
; LDSByteSize: 0 bytes/workgroup (compile time only)
; SGPRBlocks: 0
; VGPRBlocks: 2
; NumSGPRsForWavesPerEU: 26
; NumVGPRsForWavesPerEU: 22
; Occupancy: 16
; WaveLimiterHint : 1
; COMPUTE_PGM_RSRC2:SCRATCH_EN: 0
; COMPUTE_PGM_RSRC2:USER_SGPR: 2
; COMPUTE_PGM_RSRC2:TRAP_HANDLER: 0
; COMPUTE_PGM_RSRC2:TGID_X_EN: 1
; COMPUTE_PGM_RSRC2:TGID_Y_EN: 1
; COMPUTE_PGM_RSRC2:TGID_Z_EN: 1
; COMPUTE_PGM_RSRC2:TIDIG_COMP_CNT: 1
	.section	.AMDGPU.gpr_maximums,"",@progbits
	.set amdgpu.max_num_vgpr, 0
	.set amdgpu.max_num_agpr, 0
	.set amdgpu.max_num_sgpr, 0
	.section	.AMDGPU.csdata,"",@progbits
	.type	__hip_cuid_a1d9e3c2094445a0,@object ; @__hip_cuid_a1d9e3c2094445a0
	.section	.bss,"aw",@nobits
	.globl	__hip_cuid_a1d9e3c2094445a0
__hip_cuid_a1d9e3c2094445a0:
	.byte	0                               ; 0x0
	.size	__hip_cuid_a1d9e3c2094445a0, 1

	.ident	"AMD clang version 22.0.0git (https://github.com/RadeonOpenCompute/llvm-project roc-7.2.4 26084 f58b06dce1f9c15707c5f808fd002e18c2accf7e)"
	.section	".note.GNU-stack","",@progbits
	.addrsig
	.addrsig_sym __hip_cuid_a1d9e3c2094445a0
	.amdgpu_metadata
---
amdhsa.kernels:
  - .args:
      - .offset:         0
        .size:           1
        .value_kind:     by_value
      - .offset:         1
        .size:           1
        .value_kind:     by_value
      - .offset:         4
        .size:           4
        .value_kind:     by_value
      - .offset:         8
        .size:           8
        .value_kind:     by_value
      - .address_space:  global
        .offset:         16
        .size:           8
        .value_kind:     global_buffer
      - .offset:         24
        .size:           8
        .value_kind:     by_value
      - .offset:         32
        .size:           8
        .value_kind:     by_value
      - .offset:         40
        .size:           8
        .value_kind:     by_value
      - .address_space:  global
        .offset:         48
        .size:           8
        .value_kind:     global_buffer
      - .offset:         56
        .size:           8
        .value_kind:     by_value
      - .offset:         64
        .size:           8
        .value_kind:     by_value
      - .offset:         72
        .size:           4
        .value_kind:     by_value
    .group_segment_fixed_size: 0
    .kernarg_segment_align: 8
    .kernarg_segment_size: 76
    .language:       OpenCL C
    .language_version:
      - 2
      - 0
    .max_flat_workgroup_size: 1024
    .name:           _ZL18rocblas_spr_kernelILi64ELi16ELi2E24rocblas_internal_val_ptrIfEPKfPfEvbbiT2_T3_lllT4_lli
    .private_segment_fixed_size: 0
    .sgpr_count:     26
    .sgpr_spill_count: 0
    .symbol:         _ZL18rocblas_spr_kernelILi64ELi16ELi2E24rocblas_internal_val_ptrIfEPKfPfEvbbiT2_T3_lllT4_lli.kd
    .uniform_work_group_size: 1
    .uses_dynamic_stack: false
    .vgpr_count:     15
    .vgpr_spill_count: 0
    .wavefront_size: 32
    .workgroup_processor_mode: 1
  - .args:
      - .offset:         0
        .size:           1
        .value_kind:     by_value
      - .offset:         1
        .size:           1
        .value_kind:     by_value
      - .offset:         4
        .size:           4
        .value_kind:     by_value
      - .offset:         8
        .size:           8
        .value_kind:     by_value
      - .address_space:  global
        .offset:         16
        .size:           8
        .value_kind:     global_buffer
      - .offset:         24
        .size:           8
        .value_kind:     by_value
      - .offset:         32
        .size:           8
        .value_kind:     by_value
      - .offset:         40
        .size:           8
        .value_kind:     by_value
      - .address_space:  global
        .offset:         48
        .size:           8
        .value_kind:     global_buffer
      - .offset:         56
        .size:           8
        .value_kind:     by_value
      - .offset:         64
        .size:           8
        .value_kind:     by_value
      - .offset:         72
        .size:           4
        .value_kind:     by_value
    .group_segment_fixed_size: 0
    .kernarg_segment_align: 8
    .kernarg_segment_size: 76
    .language:       OpenCL C
    .language_version:
      - 2
      - 0
    .max_flat_workgroup_size: 1024
    .name:           _ZL18rocblas_spr_kernelILi64ELi16ELi2E24rocblas_internal_val_ptrIdEPKdPdEvbbiT2_T3_lllT4_lli
    .private_segment_fixed_size: 0
    .sgpr_count:     25
    .sgpr_spill_count: 0
    .symbol:         _ZL18rocblas_spr_kernelILi64ELi16ELi2E24rocblas_internal_val_ptrIdEPKdPdEvbbiT2_T3_lllT4_lli.kd
    .uniform_work_group_size: 1
    .uses_dynamic_stack: false
    .vgpr_count:     21
    .vgpr_spill_count: 0
    .wavefront_size: 32
    .workgroup_processor_mode: 1
  - .args:
      - .offset:         0
        .size:           1
        .value_kind:     by_value
      - .offset:         1
        .size:           1
        .value_kind:     by_value
      - .offset:         4
        .size:           4
        .value_kind:     by_value
      - .offset:         8
        .size:           8
        .value_kind:     by_value
      - .address_space:  global
        .offset:         16
        .size:           8
        .value_kind:     global_buffer
      - .offset:         24
        .size:           8
        .value_kind:     by_value
      - .offset:         32
        .size:           8
        .value_kind:     by_value
      - .offset:         40
        .size:           8
        .value_kind:     by_value
      - .address_space:  global
        .offset:         48
        .size:           8
        .value_kind:     global_buffer
      - .offset:         56
        .size:           8
        .value_kind:     by_value
      - .offset:         64
        .size:           8
        .value_kind:     by_value
      - .offset:         72
        .size:           4
        .value_kind:     by_value
    .group_segment_fixed_size: 0
    .kernarg_segment_align: 8
    .kernarg_segment_size: 76
    .language:       OpenCL C
    .language_version:
      - 2
      - 0
    .max_flat_workgroup_size: 1024
    .name:           _ZL18rocblas_spr_kernelILi64ELi16ELi2E24rocblas_internal_val_ptrI19rocblas_complex_numIfEEPKS2_PS2_EvbbiT2_T3_lllT4_lli
    .private_segment_fixed_size: 0
    .sgpr_count:     27
    .sgpr_spill_count: 0
    .symbol:         _ZL18rocblas_spr_kernelILi64ELi16ELi2E24rocblas_internal_val_ptrI19rocblas_complex_numIfEEPKS2_PS2_EvbbiT2_T3_lllT4_lli.kd
    .uniform_work_group_size: 1
    .uses_dynamic_stack: false
    .vgpr_count:     19
    .vgpr_spill_count: 0
    .wavefront_size: 32
    .workgroup_processor_mode: 1
  - .args:
      - .offset:         0
        .size:           1
        .value_kind:     by_value
      - .offset:         1
        .size:           1
        .value_kind:     by_value
      - .offset:         4
        .size:           4
        .value_kind:     by_value
      - .offset:         8
        .size:           16
        .value_kind:     by_value
      - .address_space:  global
        .offset:         24
        .size:           8
        .value_kind:     global_buffer
      - .offset:         32
        .size:           8
        .value_kind:     by_value
      - .offset:         40
        .size:           8
        .value_kind:     by_value
      - .offset:         48
        .size:           8
        .value_kind:     by_value
      - .address_space:  global
        .offset:         56
        .size:           8
        .value_kind:     global_buffer
      - .offset:         64
        .size:           8
        .value_kind:     by_value
      - .offset:         72
        .size:           8
        .value_kind:     by_value
      - .offset:         80
        .size:           4
        .value_kind:     by_value
    .group_segment_fixed_size: 0
    .kernarg_segment_align: 8
    .kernarg_segment_size: 84
    .language:       OpenCL C
    .language_version:
      - 2
      - 0
    .max_flat_workgroup_size: 1024
    .name:           _ZL18rocblas_spr_kernelILi64ELi16ELi1E24rocblas_internal_val_ptrI19rocblas_complex_numIdEEPKS2_PS2_EvbbiT2_T3_lllT4_lli
    .private_segment_fixed_size: 0
    .sgpr_count:     28
    .sgpr_spill_count: 0
    .symbol:         _ZL18rocblas_spr_kernelILi64ELi16ELi1E24rocblas_internal_val_ptrI19rocblas_complex_numIdEEPKS2_PS2_EvbbiT2_T3_lllT4_lli.kd
    .uniform_work_group_size: 1
    .uses_dynamic_stack: false
    .vgpr_count:     22
    .vgpr_spill_count: 0
    .wavefront_size: 32
    .workgroup_processor_mode: 1
  - .args:
      - .offset:         0
        .size:           1
        .value_kind:     by_value
      - .offset:         1
        .size:           1
        .value_kind:     by_value
      - .offset:         4
        .size:           4
        .value_kind:     by_value
      - .offset:         8
        .size:           8
        .value_kind:     by_value
      - .address_space:  global
        .offset:         16
        .size:           8
        .value_kind:     global_buffer
      - .offset:         24
        .size:           8
        .value_kind:     by_value
      - .offset:         32
        .size:           8
        .value_kind:     by_value
      - .offset:         40
        .size:           8
        .value_kind:     by_value
      - .address_space:  global
        .offset:         48
        .size:           8
        .value_kind:     global_buffer
      - .offset:         56
        .size:           8
        .value_kind:     by_value
      - .offset:         64
        .size:           8
        .value_kind:     by_value
      - .offset:         72
        .size:           4
        .value_kind:     by_value
    .group_segment_fixed_size: 0
    .kernarg_segment_align: 8
    .kernarg_segment_size: 76
    .language:       OpenCL C
    .language_version:
      - 2
      - 0
    .max_flat_workgroup_size: 1024
    .name:           _ZL18rocblas_spr_kernelILi64ELi16ELi2E24rocblas_internal_val_ptrIfEPKPKfPKPfEvbbiT2_T3_lllT4_lli
    .private_segment_fixed_size: 0
    .sgpr_count:     27
    .sgpr_spill_count: 0
    .symbol:         _ZL18rocblas_spr_kernelILi64ELi16ELi2E24rocblas_internal_val_ptrIfEPKPKfPKPfEvbbiT2_T3_lllT4_lli.kd
    .uniform_work_group_size: 1
    .uses_dynamic_stack: false
    .vgpr_count:     15
    .vgpr_spill_count: 0
    .wavefront_size: 32
    .workgroup_processor_mode: 1
  - .args:
      - .offset:         0
        .size:           1
        .value_kind:     by_value
      - .offset:         1
        .size:           1
        .value_kind:     by_value
      - .offset:         4
        .size:           4
        .value_kind:     by_value
      - .offset:         8
        .size:           8
        .value_kind:     by_value
      - .address_space:  global
        .offset:         16
        .size:           8
        .value_kind:     global_buffer
      - .offset:         24
        .size:           8
        .value_kind:     by_value
      - .offset:         32
        .size:           8
        .value_kind:     by_value
      - .offset:         40
        .size:           8
        .value_kind:     by_value
      - .address_space:  global
        .offset:         48
        .size:           8
        .value_kind:     global_buffer
      - .offset:         56
        .size:           8
        .value_kind:     by_value
      - .offset:         64
        .size:           8
        .value_kind:     by_value
      - .offset:         72
        .size:           4
        .value_kind:     by_value
    .group_segment_fixed_size: 0
    .kernarg_segment_align: 8
    .kernarg_segment_size: 76
    .language:       OpenCL C
    .language_version:
      - 2
      - 0
    .max_flat_workgroup_size: 1024
    .name:           _ZL18rocblas_spr_kernelILi64ELi16ELi2E24rocblas_internal_val_ptrIdEPKPKdPKPdEvbbiT2_T3_lllT4_lli
    .private_segment_fixed_size: 0
    .sgpr_count:     26
    .sgpr_spill_count: 0
    .symbol:         _ZL18rocblas_spr_kernelILi64ELi16ELi2E24rocblas_internal_val_ptrIdEPKPKdPKPdEvbbiT2_T3_lllT4_lli.kd
    .uniform_work_group_size: 1
    .uses_dynamic_stack: false
    .vgpr_count:     21
    .vgpr_spill_count: 0
    .wavefront_size: 32
    .workgroup_processor_mode: 1
  - .args:
      - .offset:         0
        .size:           1
        .value_kind:     by_value
      - .offset:         1
        .size:           1
        .value_kind:     by_value
      - .offset:         4
        .size:           4
        .value_kind:     by_value
      - .offset:         8
        .size:           8
        .value_kind:     by_value
      - .address_space:  global
        .offset:         16
        .size:           8
        .value_kind:     global_buffer
      - .offset:         24
        .size:           8
        .value_kind:     by_value
      - .offset:         32
        .size:           8
        .value_kind:     by_value
      - .offset:         40
        .size:           8
        .value_kind:     by_value
      - .address_space:  global
        .offset:         48
        .size:           8
        .value_kind:     global_buffer
      - .offset:         56
        .size:           8
        .value_kind:     by_value
      - .offset:         64
        .size:           8
        .value_kind:     by_value
      - .offset:         72
        .size:           4
        .value_kind:     by_value
    .group_segment_fixed_size: 0
    .kernarg_segment_align: 8
    .kernarg_segment_size: 76
    .language:       OpenCL C
    .language_version:
      - 2
      - 0
    .max_flat_workgroup_size: 1024
    .name:           _ZL18rocblas_spr_kernelILi64ELi16ELi2E24rocblas_internal_val_ptrI19rocblas_complex_numIfEEPKPKS2_PKPS2_EvbbiT2_T3_lllT4_lli
    .private_segment_fixed_size: 0
    .sgpr_count:     24
    .sgpr_spill_count: 0
    .symbol:         _ZL18rocblas_spr_kernelILi64ELi16ELi2E24rocblas_internal_val_ptrI19rocblas_complex_numIfEEPKPKS2_PKPS2_EvbbiT2_T3_lllT4_lli.kd
    .uniform_work_group_size: 1
    .uses_dynamic_stack: false
    .vgpr_count:     24
    .vgpr_spill_count: 0
    .wavefront_size: 32
    .workgroup_processor_mode: 1
  - .args:
      - .offset:         0
        .size:           1
        .value_kind:     by_value
      - .offset:         1
        .size:           1
        .value_kind:     by_value
      - .offset:         4
        .size:           4
        .value_kind:     by_value
      - .offset:         8
        .size:           16
        .value_kind:     by_value
      - .address_space:  global
        .offset:         24
        .size:           8
        .value_kind:     global_buffer
      - .offset:         32
        .size:           8
        .value_kind:     by_value
      - .offset:         40
        .size:           8
        .value_kind:     by_value
      - .offset:         48
        .size:           8
        .value_kind:     by_value
      - .address_space:  global
        .offset:         56
        .size:           8
        .value_kind:     global_buffer
      - .offset:         64
        .size:           8
        .value_kind:     by_value
      - .offset:         72
        .size:           8
        .value_kind:     by_value
      - .offset:         80
        .size:           4
        .value_kind:     by_value
    .group_segment_fixed_size: 0
    .kernarg_segment_align: 8
    .kernarg_segment_size: 84
    .language:       OpenCL C
    .language_version:
      - 2
      - 0
    .max_flat_workgroup_size: 1024
    .name:           _ZL18rocblas_spr_kernelILi64ELi16ELi1E24rocblas_internal_val_ptrI19rocblas_complex_numIdEEPKPKS2_PKPS2_EvbbiT2_T3_lllT4_lli
    .private_segment_fixed_size: 0
    .sgpr_count:     26
    .sgpr_spill_count: 0
    .symbol:         _ZL18rocblas_spr_kernelILi64ELi16ELi1E24rocblas_internal_val_ptrI19rocblas_complex_numIdEEPKPKS2_PKPS2_EvbbiT2_T3_lllT4_lli.kd
    .uniform_work_group_size: 1
    .uses_dynamic_stack: false
    .vgpr_count:     22
    .vgpr_spill_count: 0
    .wavefront_size: 32
    .workgroup_processor_mode: 1
amdhsa.target:   amdgcn-amd-amdhsa--gfx1201
amdhsa.version:
  - 1
  - 2
...

	.end_amdgpu_metadata
